;; amdgpu-corpus repo=ROCm/aiter kind=harvested arch=n/a opt=n/a

/root/src/amdgpu-assembly/repos/ROCm__aiter/hsa/gfx942/fmoe_2stages/fmoe_stage1_bf16_pertokenFp8_doweight_g1u1_48x512_pf2.co:	file format elf64-amdgpu

Disassembly of section .text:

0000000000002a00 <_ZN5aiter53fmoe_stage1_bf16_pertokenFp8_doweight_g1u1_48x512_pf2E>:
	s_and_b32 s1, s1, 0xffff                                   // 000000002A00: 8601FF01 0000FFFF
	s_load_dwordx2 s[8:9], s[0:1], 0x0                         // 000000002A08: C0060200 00000000
	s_load_dwordx2 s[20:21], s[0:1], 0x10                      // 000000002A10: C0060500 00000010
	s_load_dwordx2 s[24:25], s[0:1], 0x20                      // 000000002A18: C0060600 00000020
	s_load_dwordx2 s[48:49], s[0:1], 0x30                      // 000000002A20: C0060C00 00000030
	s_load_dwordx2 s[28:29], s[0:1], 0x40                      // 000000002A28: C0060700 00000040
	s_load_dwordx2 s[32:33], s[0:1], 0x50                      // 000000002A30: C0060800 00000050
	s_load_dwordx2 s[36:37], s[0:1], 0x60                      // 000000002A38: C0060900 00000060
	s_load_dwordx2 s[12:13], s[0:1], 0x70                      // 000000002A40: C0060300 00000070
	s_load_dwordx2 s[44:45], s[0:1], 0x80                      // 000000002A48: C0060B00 00000080
	s_mov_b32 s89, 0                                           // 000000002A50: BED90080
	s_load_dword s64, s[0:1], 0x90                             // 000000002A54: C0021000 00000090
	s_load_dword s65, s[0:1], 0xa0                             // 000000002A5C: C0021040 000000A0
	s_load_dword s66, s[0:1], 0xb0                             // 000000002A64: C0021080 000000B0
	s_load_dword s67, s[0:1], 0xc0                             // 000000002A6C: C00210C0 000000C0
	s_load_dword s68, s[0:1], 0xd0                             // 000000002A74: C0021100 000000D0
	s_load_dword s69, s[0:1], 0xe0                             // 000000002A7C: C0021140 000000E0
	s_load_dword s71, s[0:1], 0xf0                             // 000000002A84: C00211C0 000000F0
	s_load_dword s72, s[0:1], 0x100                            // 000000002A8C: C0021200 00000100
	s_load_dword s74, s[0:1], 0x110                            // 000000002A94: C0021280 00000110
	s_load_dword s76, s[0:1], 0x120                            // 000000002A9C: C0021300 00000120
	s_load_dword s56, s[0:1], 0x130                            // 000000002AA4: C0020E00 00000130
	s_load_dword s88, s[0:1], 0x140                            // 000000002AAC: C0021600 00000140
	s_load_dword s89, s[0:1], 0x150                            // 000000002AB4: C0021640 00000150
	s_load_dwordx2 s[40:41], s[0:1], 0x160                     // 000000002ABC: C0060A00 00000160
	v_lshrrev_b32_e32 v1, 10, v0                               // 000000002AC4: 2002008A
	v_lshrrev_b32_e32 v2, 10, v1                               // 000000002AC8: 2004028A
	v_and_b32_e32 v2, 0x3ff, v2                                // 000000002ACC: 260404FF 000003FF
	v_and_b32_e32 v1, 0x3ff, v1                                // 000000002AD4: 260202FF 000003FF
	v_and_b32_e32 v0, 0x3ff, v0                                // 000000002ADC: 260000FF 000003FF
	v_lshrrev_b32_e32 v3, 6, v0                                // 000000002AE4: 20060086
	v_and_b32_e32 v0, 63, v0                                   // 000000002AE8: 260000BF
	s_mov_b32 s2, s2                                           // 000000002AEC: BE820002
	s_mov_b32 s3, s3                                           // 000000002AF0: BE830003
	s_mov_b32 s4, s4                                           // 000000002AF4: BE840004
	v_readfirstlane_b32 s7, v3                                 // 000000002AF8: 7E0E0503
	s_waitcnt lgkmcnt(0)                                       // 000000002AFC: BF8CC07F
	s_and_b32 s49, s49, 0xffff                                 // 000000002B00: 8631FF31 0000FFFF
	s_load_dword s48, s[48:49], 0x0                            // 000000002B08: C0020C18 00000000
	s_and_b32 s45, s45, 0xffff                                 // 000000002B10: 862DFF2D 0000FFFF
	s_and_b32 s9, s9, 0xffff                                   // 000000002B18: 8609FF09 0000FFFF
	s_mul_i32 s60, s66, s68                                    // 000000002B20: 923C4442
	s_mul_i32 s61, s66, 4                                      // 000000002B24: 923D8442
	s_mov_b32 s22, s60                                         // 000000002B28: BE96003C
	s_mov_b32 s26, -16                                         // 000000002B2C: BE9A00D0
	s_mov_b32 s30, s61                                         // 000000002B30: BE9E003D
	s_mov_b32 s14, 0xc0                                        // 000000002B34: BE8E00FF 000000C0
	s_mov_b32 s38, -16                                         // 000000002B3C: BEA600D0
	s_mov_b32 s10, -16                                         // 000000002B40: BE8A00D0
	s_mov_b32 s34, 0x800                                       // 000000002B44: BEA200FF 00000800
	s_mov_b32 s23, 0x20000                                     // 000000002B4C: BE9700FF 00020000
	s_mov_b32 s27, 0x20000                                     // 000000002B54: BE9B00FF 00020000
	s_mov_b32 s31, 0x20000                                     // 000000002B5C: BE9F00FF 00020000
	s_mov_b32 s35, 0x20000                                     // 000000002B64: BEA300FF 00020000
	s_mov_b32 s15, 0x20000                                     // 000000002B6C: BE8F00FF 00020000
	s_mov_b32 s39, 0x20000                                     // 000000002B74: BEA700FF 00020000
	s_mov_b32 s11, 0x20000                                     // 000000002B7C: BE8B00FF 00020000
	s_and_b32 s21, s21, 0xffff                                 // 000000002B84: 8615FF15 0000FFFF
	s_and_b32 s25, s25, 0xffff                                 // 000000002B8C: 8619FF19 0000FFFF
	s_and_b32 s29, s29, 0xffff                                 // 000000002B94: 861DFF1D 0000FFFF
	s_and_b32 s33, s33, 0xffff                                 // 000000002B9C: 8621FF21 0000FFFF
	s_and_b32 s13, s13, 0xffff                                 // 000000002BA4: 860DFF0D 0000FFFF
	s_and_b32 s37, s37, 0xffff                                 // 000000002BAC: 8625FF25 0000FFFF
	s_or_b32 s21, s21, 0x40000                                 // 000000002BB4: 8715FF15 00040000
	s_or_b32 s25, s25, 0x40000                                 // 000000002BBC: 8719FF19 00040000
	s_or_b32 s29, s29, 0x40000                                 // 000000002BC4: 871DFF1D 00040000
	s_or_b32 s33, s33, 0x40000                                 // 000000002BCC: 8721FF21 00040000
	s_or_b32 s13, s13, 0x40000                                 // 000000002BD4: 870DFF0D 00040000
	s_or_b32 s37, s37, 0x40000                                 // 000000002BDC: 8725FF25 00040000
	s_mov_b32 s42, -16                                         // 000000002BE4: BEAA00D0
	s_mov_b32 s43, 0x20000                                     // 000000002BE8: BEAB00FF 00020000
	s_and_b32 s41, s41, 0xffff                                 // 000000002BF0: 8629FF29 0000FFFF
	s_or_b32 s41, s41, 0x40000                                 // 000000002BF8: 8729FF29 00040000
	v_accvgpr_write_b32 a175, 0                                // 000000002C00: D3D940AF 18000080
	v_mov_b32_e32 v250, 0                                      // 000000002C08: 7FF40280
	s_waitcnt lgkmcnt(0)                                       // 000000002C0C: BF8CC07F
	s_mul_i32 s60, s3, 48                                      // 000000002C10: 923CB003
	s_cmp_lt_i32 s60, s48                                      // 000000002C14: BF04303C
	s_cbranch_scc0 label_3204                                  // 000000002C18: BF84317A
	s_mov_b32 s80, 0                                           // 000000002C1C: BED00080
	s_lshr_b32 s81, s64, s88                                   // 000000002C20: 8F515840
	s_mul_i32 s60, s3, 4                                       // 000000002C24: 923C8403
	s_add_u32 s44, s60, s44                                    // 000000002C28: 802C2C3C
	s_addc_u32 s45, 0, s45                                     // 000000002C2C: 822D2D80
	s_load_dword s5, s[44:45], 0x0                             // 000000002C30: C0020156 00000000
	s_mul_i32 s60, s3, 48                                      // 000000002C38: 923CB003
	s_mul_i32 s60, 4, s60                                      // 000000002C3C: 923C3C84
	s_add_u32 s12, s60, s12                                    // 000000002C40: 800C0C3C
	s_addc_u32 s13, 0, s13                                     // 000000002C44: 820D0D80
	v_and_b32_e32 v4, 15, v0                                   // 000000002C48: 2608008F
	v_lshlrev_b32_e32 v4, 2, v4                                // 000000002C4C: 24080882
	buffer_load_dword v29, v4, s[12:15], 0 offen               // 000000002C50: E0501000 80031D04
	v_add_u32_e32 v4, 64, v4                                   // 000000002C58: 680808C0
	buffer_load_dword v30, v4, s[12:15], 0 offen               // 000000002C5C: E0501000 80031E04
	v_add_u32_e32 v4, 64, v4                                   // 000000002C64: 680808C0
	buffer_load_dword v31, v4, s[12:15], 0 offen               // 000000002C68: E0501000 80031F04
	v_add_u32_e32 v4, 64, v4                                   // 000000002C70: 680808C0
	s_mul_i32 s60, 4, s7                                       // 000000002C74: 923C0784
	v_lshlrev_b32_e32 v4, 4, v0                                // 000000002C78: 24080084
	v_add_u32_e32 v4, s60, v4                                  // 000000002C7C: 6808083C
	buffer_load_dword v3, v4, s[12:15], 0 offen                // 000000002C80: E0501000 80030304
	v_mov_b32_e32 v56, 0                                       // 000000002C88: 7E700280
	v_mov_b32_e32 v152, 0                                      // 000000002C8C: 7F300280
	v_mov_b32_e32 v57, 0                                       // 000000002C90: 7E720280
	v_mov_b32_e32 v153, 0                                      // 000000002C94: 7F320280
	v_mov_b32_e32 v58, 0                                       // 000000002C98: 7E740280
	v_mov_b32_e32 v154, 0                                      // 000000002C9C: 7F340280
	v_mov_b32_e32 v59, 0                                       // 000000002CA0: 7E760280
	v_mov_b32_e32 v155, 0                                      // 000000002CA4: 7F360280
	v_mov_b32_e32 v60, 0                                       // 000000002CA8: 7E780280
	v_mov_b32_e32 v156, 0                                      // 000000002CAC: 7F380280
	v_mov_b32_e32 v61, 0                                       // 000000002CB0: 7E7A0280
	v_mov_b32_e32 v157, 0                                      // 000000002CB4: 7F3A0280
	v_mov_b32_e32 v62, 0                                       // 000000002CB8: 7E7C0280
	v_mov_b32_e32 v158, 0                                      // 000000002CBC: 7F3C0280
	v_mov_b32_e32 v63, 0                                       // 000000002CC0: 7E7E0280
	v_mov_b32_e32 v159, 0                                      // 000000002CC4: 7F3E0280
	v_mov_b32_e32 v64, 0                                       // 000000002CC8: 7E800280
	v_mov_b32_e32 v160, 0                                      // 000000002CCC: 7F400280
	v_mov_b32_e32 v65, 0                                       // 000000002CD0: 7E820280
	v_mov_b32_e32 v161, 0                                      // 000000002CD4: 7F420280
	v_mov_b32_e32 v66, 0                                       // 000000002CD8: 7E840280
	v_mov_b32_e32 v162, 0                                      // 000000002CDC: 7F440280
	v_mov_b32_e32 v67, 0                                       // 000000002CE0: 7E860280
	v_mov_b32_e32 v163, 0                                      // 000000002CE4: 7F460280
	v_mov_b32_e32 v68, 0                                       // 000000002CE8: 7E880280
	v_mov_b32_e32 v164, 0                                      // 000000002CEC: 7F480280
	v_mov_b32_e32 v69, 0                                       // 000000002CF0: 7E8A0280
	v_mov_b32_e32 v165, 0                                      // 000000002CF4: 7F4A0280
	v_mov_b32_e32 v70, 0                                       // 000000002CF8: 7E8C0280
	v_mov_b32_e32 v166, 0                                      // 000000002CFC: 7F4C0280
	v_mov_b32_e32 v71, 0                                       // 000000002D00: 7E8E0280
	v_mov_b32_e32 v167, 0                                      // 000000002D04: 7F4E0280
	v_mov_b32_e32 v72, 0                                       // 000000002D08: 7E900280
	v_mov_b32_e32 v168, 0                                      // 000000002D0C: 7F500280
	v_mov_b32_e32 v73, 0                                       // 000000002D10: 7E920280
	v_mov_b32_e32 v169, 0                                      // 000000002D14: 7F520280
	v_mov_b32_e32 v74, 0                                       // 000000002D18: 7E940280
	v_mov_b32_e32 v170, 0                                      // 000000002D1C: 7F540280
	v_mov_b32_e32 v75, 0                                       // 000000002D20: 7E960280
	v_mov_b32_e32 v171, 0                                      // 000000002D24: 7F560280
	v_mov_b32_e32 v76, 0                                       // 000000002D28: 7E980280
	v_mov_b32_e32 v172, 0                                      // 000000002D2C: 7F580280
	v_mov_b32_e32 v77, 0                                       // 000000002D30: 7E9A0280
	v_mov_b32_e32 v173, 0                                      // 000000002D34: 7F5A0280
	v_mov_b32_e32 v78, 0                                       // 000000002D38: 7E9C0280
	v_mov_b32_e32 v174, 0                                      // 000000002D3C: 7F5C0280
	v_mov_b32_e32 v79, 0                                       // 000000002D40: 7E9E0280
	v_mov_b32_e32 v175, 0                                      // 000000002D44: 7F5E0280
	v_mov_b32_e32 v80, 0                                       // 000000002D48: 7EA00280
	v_mov_b32_e32 v176, 0                                      // 000000002D4C: 7F600280
	v_mov_b32_e32 v81, 0                                       // 000000002D50: 7EA20280
	v_mov_b32_e32 v177, 0                                      // 000000002D54: 7F620280
	v_mov_b32_e32 v82, 0                                       // 000000002D58: 7EA40280
	v_mov_b32_e32 v178, 0                                      // 000000002D5C: 7F640280
	v_mov_b32_e32 v83, 0                                       // 000000002D60: 7EA60280
	v_mov_b32_e32 v179, 0                                      // 000000002D64: 7F660280
	v_mov_b32_e32 v84, 0                                       // 000000002D68: 7EA80280
	v_mov_b32_e32 v180, 0                                      // 000000002D6C: 7F680280
	v_mov_b32_e32 v85, 0                                       // 000000002D70: 7EAA0280
	v_mov_b32_e32 v181, 0                                      // 000000002D74: 7F6A0280
	v_mov_b32_e32 v86, 0                                       // 000000002D78: 7EAC0280
	v_mov_b32_e32 v182, 0                                      // 000000002D7C: 7F6C0280
	v_mov_b32_e32 v87, 0                                       // 000000002D80: 7EAE0280
	v_mov_b32_e32 v183, 0                                      // 000000002D84: 7F6E0280
	v_mov_b32_e32 v88, 0                                       // 000000002D88: 7EB00280
	v_mov_b32_e32 v184, 0                                      // 000000002D8C: 7F700280
	v_mov_b32_e32 v89, 0                                       // 000000002D90: 7EB20280
	v_mov_b32_e32 v185, 0                                      // 000000002D94: 7F720280
	v_mov_b32_e32 v90, 0                                       // 000000002D98: 7EB40280
	v_mov_b32_e32 v186, 0                                      // 000000002D9C: 7F740280
	v_mov_b32_e32 v91, 0                                       // 000000002DA0: 7EB60280
	v_mov_b32_e32 v187, 0                                      // 000000002DA4: 7F760280
	v_mov_b32_e32 v92, 0                                       // 000000002DA8: 7EB80280
	v_mov_b32_e32 v188, 0                                      // 000000002DAC: 7F780280
	v_mov_b32_e32 v93, 0                                       // 000000002DB0: 7EBA0280
	v_mov_b32_e32 v189, 0                                      // 000000002DB4: 7F7A0280
	v_mov_b32_e32 v94, 0                                       // 000000002DB8: 7EBC0280
	v_mov_b32_e32 v190, 0                                      // 000000002DBC: 7F7C0280
	v_mov_b32_e32 v95, 0                                       // 000000002DC0: 7EBE0280
	v_mov_b32_e32 v191, 0                                      // 000000002DC4: 7F7E0280
	v_mov_b32_e32 v96, 0                                       // 000000002DC8: 7EC00280
	v_mov_b32_e32 v192, 0                                      // 000000002DCC: 7F800280
	v_mov_b32_e32 v97, 0                                       // 000000002DD0: 7EC20280
	v_mov_b32_e32 v193, 0                                      // 000000002DD4: 7F820280
	v_mov_b32_e32 v98, 0                                       // 000000002DD8: 7EC40280
	v_mov_b32_e32 v194, 0                                      // 000000002DDC: 7F840280
	v_mov_b32_e32 v99, 0                                       // 000000002DE0: 7EC60280
	v_mov_b32_e32 v195, 0                                      // 000000002DE4: 7F860280
	v_mov_b32_e32 v100, 0                                      // 000000002DE8: 7EC80280
	v_mov_b32_e32 v196, 0                                      // 000000002DEC: 7F880280
	v_mov_b32_e32 v101, 0                                      // 000000002DF0: 7ECA0280
	v_mov_b32_e32 v197, 0                                      // 000000002DF4: 7F8A0280
	v_mov_b32_e32 v102, 0                                      // 000000002DF8: 7ECC0280
	v_mov_b32_e32 v198, 0                                      // 000000002DFC: 7F8C0280
	v_mov_b32_e32 v103, 0                                      // 000000002E00: 7ECE0280
	v_mov_b32_e32 v199, 0                                      // 000000002E04: 7F8E0280
	v_mov_b32_e32 v104, 0                                      // 000000002E08: 7ED00280
	v_mov_b32_e32 v200, 0                                      // 000000002E0C: 7F900280
	v_mov_b32_e32 v105, 0                                      // 000000002E10: 7ED20280
	v_mov_b32_e32 v201, 0                                      // 000000002E14: 7F920280
	v_mov_b32_e32 v106, 0                                      // 000000002E18: 7ED40280
	v_mov_b32_e32 v202, 0                                      // 000000002E1C: 7F940280
	v_mov_b32_e32 v107, 0                                      // 000000002E20: 7ED60280
	v_mov_b32_e32 v203, 0                                      // 000000002E24: 7F960280
	v_mov_b32_e32 v108, 0                                      // 000000002E28: 7ED80280
	v_mov_b32_e32 v204, 0                                      // 000000002E2C: 7F980280
	v_mov_b32_e32 v109, 0                                      // 000000002E30: 7EDA0280
	v_mov_b32_e32 v205, 0                                      // 000000002E34: 7F9A0280
	v_mov_b32_e32 v110, 0                                      // 000000002E38: 7EDC0280
	v_mov_b32_e32 v206, 0                                      // 000000002E3C: 7F9C0280
	v_mov_b32_e32 v111, 0                                      // 000000002E40: 7EDE0280
	v_mov_b32_e32 v207, 0                                      // 000000002E44: 7F9E0280
	v_mov_b32_e32 v112, 0                                      // 000000002E48: 7EE00280
	v_mov_b32_e32 v208, 0                                      // 000000002E4C: 7FA00280
	v_mov_b32_e32 v113, 0                                      // 000000002E50: 7EE20280
	v_mov_b32_e32 v209, 0                                      // 000000002E54: 7FA20280
	v_mov_b32_e32 v114, 0                                      // 000000002E58: 7EE40280
	v_mov_b32_e32 v210, 0                                      // 000000002E5C: 7FA40280
	v_mov_b32_e32 v115, 0                                      // 000000002E60: 7EE60280
	v_mov_b32_e32 v211, 0                                      // 000000002E64: 7FA60280
	v_mov_b32_e32 v116, 0                                      // 000000002E68: 7EE80280
	v_mov_b32_e32 v212, 0                                      // 000000002E6C: 7FA80280
	v_mov_b32_e32 v117, 0                                      // 000000002E70: 7EEA0280
	v_mov_b32_e32 v213, 0                                      // 000000002E74: 7FAA0280
	v_mov_b32_e32 v118, 0                                      // 000000002E78: 7EEC0280
	v_mov_b32_e32 v214, 0                                      // 000000002E7C: 7FAC0280
	v_mov_b32_e32 v119, 0                                      // 000000002E80: 7EEE0280
	v_mov_b32_e32 v215, 0                                      // 000000002E84: 7FAE0280
	v_mov_b32_e32 v120, 0                                      // 000000002E88: 7EF00280
	v_mov_b32_e32 v216, 0                                      // 000000002E8C: 7FB00280
	v_mov_b32_e32 v121, 0                                      // 000000002E90: 7EF20280
	v_mov_b32_e32 v217, 0                                      // 000000002E94: 7FB20280
	v_mov_b32_e32 v122, 0                                      // 000000002E98: 7EF40280
	v_mov_b32_e32 v218, 0                                      // 000000002E9C: 7FB40280
	v_mov_b32_e32 v123, 0                                      // 000000002EA0: 7EF60280
	v_mov_b32_e32 v219, 0                                      // 000000002EA4: 7FB60280
	v_mov_b32_e32 v124, 0                                      // 000000002EA8: 7EF80280
	v_mov_b32_e32 v220, 0                                      // 000000002EAC: 7FB80280
	v_mov_b32_e32 v125, 0                                      // 000000002EB0: 7EFA0280
	v_mov_b32_e32 v221, 0                                      // 000000002EB4: 7FBA0280
	v_mov_b32_e32 v126, 0                                      // 000000002EB8: 7EFC0280
	v_mov_b32_e32 v222, 0                                      // 000000002EBC: 7FBC0280
	v_mov_b32_e32 v127, 0                                      // 000000002EC0: 7EFE0280
	v_mov_b32_e32 v223, 0                                      // 000000002EC4: 7FBE0280
	v_mov_b32_e32 v128, 0                                      // 000000002EC8: 7F000280
	v_mov_b32_e32 v224, 0                                      // 000000002ECC: 7FC00280
	v_mov_b32_e32 v129, 0                                      // 000000002ED0: 7F020280
	v_mov_b32_e32 v225, 0                                      // 000000002ED4: 7FC20280
	v_mov_b32_e32 v130, 0                                      // 000000002ED8: 7F040280
	v_mov_b32_e32 v226, 0                                      // 000000002EDC: 7FC40280
	v_mov_b32_e32 v131, 0                                      // 000000002EE0: 7F060280
	v_mov_b32_e32 v227, 0                                      // 000000002EE4: 7FC60280
	v_mov_b32_e32 v132, 0                                      // 000000002EE8: 7F080280
	v_mov_b32_e32 v228, 0                                      // 000000002EEC: 7FC80280
	v_mov_b32_e32 v133, 0                                      // 000000002EF0: 7F0A0280
	v_mov_b32_e32 v229, 0                                      // 000000002EF4: 7FCA0280
	v_mov_b32_e32 v134, 0                                      // 000000002EF8: 7F0C0280
	v_mov_b32_e32 v230, 0                                      // 000000002EFC: 7FCC0280
	v_mov_b32_e32 v135, 0                                      // 000000002F00: 7F0E0280
	v_mov_b32_e32 v231, 0                                      // 000000002F04: 7FCE0280
	v_mov_b32_e32 v136, 0                                      // 000000002F08: 7F100280
	v_mov_b32_e32 v232, 0                                      // 000000002F0C: 7FD00280
	v_mov_b32_e32 v137, 0                                      // 000000002F10: 7F120280
	v_mov_b32_e32 v233, 0                                      // 000000002F14: 7FD20280
	v_mov_b32_e32 v138, 0                                      // 000000002F18: 7F140280
	v_mov_b32_e32 v234, 0                                      // 000000002F1C: 7FD40280
	v_mov_b32_e32 v139, 0                                      // 000000002F20: 7F160280
	v_mov_b32_e32 v235, 0                                      // 000000002F24: 7FD60280
	v_mov_b32_e32 v140, 0                                      // 000000002F28: 7F180280
	v_mov_b32_e32 v236, 0                                      // 000000002F2C: 7FD80280
	v_mov_b32_e32 v141, 0                                      // 000000002F30: 7F1A0280
	v_mov_b32_e32 v237, 0                                      // 000000002F34: 7FDA0280
	v_mov_b32_e32 v142, 0                                      // 000000002F38: 7F1C0280
	v_mov_b32_e32 v238, 0                                      // 000000002F3C: 7FDC0280
	v_mov_b32_e32 v143, 0                                      // 000000002F40: 7F1E0280
	v_mov_b32_e32 v239, 0                                      // 000000002F44: 7FDE0280
	v_mov_b32_e32 v144, 0                                      // 000000002F48: 7F200280
	v_mov_b32_e32 v240, 0                                      // 000000002F4C: 7FE00280
	v_mov_b32_e32 v145, 0                                      // 000000002F50: 7F220280
	v_mov_b32_e32 v241, 0                                      // 000000002F54: 7FE20280
	v_mov_b32_e32 v146, 0                                      // 000000002F58: 7F240280
	v_mov_b32_e32 v242, 0                                      // 000000002F5C: 7FE40280
	v_mov_b32_e32 v147, 0                                      // 000000002F60: 7F260280
	v_mov_b32_e32 v243, 0                                      // 000000002F64: 7FE60280
	v_mov_b32_e32 v148, 0                                      // 000000002F68: 7F280280
	v_mov_b32_e32 v244, 0                                      // 000000002F6C: 7FE80280
	v_mov_b32_e32 v149, 0                                      // 000000002F70: 7F2A0280
	v_mov_b32_e32 v245, 0                                      // 000000002F74: 7FEA0280
	v_mov_b32_e32 v150, 0                                      // 000000002F78: 7F2C0280
	v_mov_b32_e32 v246, 0                                      // 000000002F7C: 7FEC0280
	v_mov_b32_e32 v151, 0                                      // 000000002F80: 7F2E0280
	v_mov_b32_e32 v247, 0                                      // 000000002F84: 7FEE0280
	s_mul_i32 s60, s2, 0x400                                   // 000000002F88: 923CFF02 00000400
	s_cmp_eq_u32 s88, 0                                        // 000000002F90: BF068058
	s_cselect_b32 s61, 1, 2                                    // 000000002F94: 853D8281
	s_mul_i32 s60, s60, s61                                    // 000000002F98: 923C3D3C
	s_mov_b32 s90, s8                                          // 000000002F9C: BEDA0008
	s_mov_b32 s91, s9                                          // 000000002FA0: BEDB0009
	s_add_u32 s8, s60, s8                                      // 000000002FA4: 8008083C
	s_addc_u32 s9, 0, s9                                       // 000000002FA8: 82090980
	v_lshrrev_b32_e32 v4, 4, v0                                // 000000002FAC: 20080084
	v_mul_lo_u32 v20, 34, v4                                   // 000000002FB0: D2850014 000208A2
	v_and_b32_e32 v4, 15, v0                                   // 000000002FB8: 2608008F
	v_mul_lo_u32 v5, 2, v4                                     // 000000002FBC: D2850005 00020882
	v_add_u32_e32 v20, v5, v20                                 // 000000002FC4: 68282905
	s_mul_i32 s60, s7, 0x88                                    // 000000002FC8: 923CFF07 00000088
	v_add_u32_e32 v20, s60, v20                                // 000000002FD0: 6828283C
	v_lshlrev_b32_e32 v20, 2, v20                              // 000000002FD4: 24282882
	v_and_b32_e32 v4, 31, v0                                   // 000000002FD8: 2608009F
	v_lshrrev_b32_e32 v4, 1, v4                                // 000000002FDC: 20080881
	v_mul_lo_u32 v21, 34, v4                                   // 000000002FE0: D2850015 000208A2
	v_lshrrev_b32_e32 v4, 5, v0                                // 000000002FE8: 20080085
	v_mul_lo_u32 v4, 8, v4                                     // 000000002FEC: D2850004 00020888
	v_add_u32_e32 v21, v21, v4                                 // 000000002FF4: 682A0915
	v_and_b32_e32 v5, 1, v0                                    // 000000002FF8: 260A0081
	v_add_u32_e32 v21, v5, v21                                 // 000000002FFC: 682A2B05
	s_mul_i32 s60, s7, 2                                       // 000000003000: 923C8207
	v_add_u32_e32 v21, s60, v21                                // 000000003004: 682A2A3C
	v_lshlrev_b32_e32 v21, 2, v21                              // 000000003008: 242A2A82
	s_mul_i32 s60, s7, 0x620                                   // 00000000300C: 923CFF07 00000620
	s_add_u32 s48, 0, s60                                      // 000000003014: 80303C80
	s_add_u32 s49, 0x1880, s48                                 // 000000003018: 803130FF 00001880
	v_lshrrev_b32_e32 v4, 4, v0                                // 000000003020: 20080084
	v_lshlrev_b32_e32 v5, 2, v4                                // 000000003024: 240A0882
	v_and_b32_e32 v4, 15, v0                                   // 000000003028: 2608008F
	v_lshrrev_b32_e32 v6, 2, v4                                // 00000000302C: 200C0882
	v_lshlrev_b32_e32 v6, 5, v6                                // 000000003030: 240C0C85
	v_add_u32_e32 v5, v6, v5                                   // 000000003034: 680A0B06
	v_and_b32_e32 v4, 3, v0                                    // 000000003038: 26080083
	v_mul_u32_u24_e32 v6, 0x188, v4                            // 00000000303C: 100C08FF 00000188
	v_add_u32_e32 v5, v6, v5                                   // 000000003044: 680A0B06
	v_lshlrev_b32_e32 v2, 2, v5                                // 000000003048: 24040A82
	s_waitcnt lgkmcnt(0)                                       // 00000000304C: BF8CC07F
	s_mul_i32 s60, s2, 0x200                                   // 000000003050: 923CFF02 00000200
	s_mul_i32 s60, s60, s69                                    // 000000003058: 923C453C
	s_mul_i32 s61, s5, s72                                     // 00000000305C: 923D4805
	s_add_u32 s60, s61, s60                                    // 000000003060: 803C3C3D
	s_add_u32 s24, s60, s24                                    // 000000003064: 8018183C
	s_addc_u32 s25, 0, s25                                     // 000000003068: 82191980
	s_lshr_b32 s60, s64, s88                                   // 00000000306C: 8F3C5840
	s_mul_i32 s60, s4, s60                                     // 000000003070: 923C3C04
	s_lshr_b32 s60, s60, 7                                     // 000000003074: 8F3C873C
	s_mul_i32 s60, s60, 0x800                                  // 000000003078: 923CFF3C 00000800
	s_add_u32 s24, s60, s24                                    // 000000003080: 8018183C
	s_addc_u32 s25, 0, s25                                     // 000000003084: 82191980
	s_lshr_b32 s60, s69, s88                                   // 000000003088: 8F3C5845
	s_mul_i32 s60, s4, s60                                     // 00000000308C: 923C3C04
	s_add_u32 s20, s60, s20                                    // 000000003090: 8014143C
	s_addc_u32 s21, 0, s21                                     // 000000003094: 82151580
	s_mul_i32 s60, s7, 16                                      // 000000003098: 923C9007
	s_mul_i32 s60, s60, s69                                    // 00000000309C: 923C453C
	v_lshlrev_b32_e32 v47, 4, v0                               // 0000000030A0: 245E0084
	v_add_u32_e32 v47, s60, v47                                // 0000000030A4: 685E5E3C
	s_mul_i32 s60, 64, s69                                     // 0000000030A8: 923C45C0
	v_add_u32_e32 v48, s60, v47                                // 0000000030AC: 68605E3C
	v_add_u32_e32 v49, s60, v48                                // 0000000030B0: 6862603C
	v_add_u32_e32 v50, s60, v49                                // 0000000030B4: 6864623C
	v_add_u32_e32 v51, s60, v50                                // 0000000030B8: 6866643C
	v_add_u32_e32 v52, s60, v51                                // 0000000030BC: 6868663C
	v_add_u32_e32 v53, s60, v52                                // 0000000030C0: 686A683C
	v_add_u32_e32 v54, s60, v53                                // 0000000030C4: 686C6A3C
	s_mov_b32 s84, s24                                         // 0000000030C8: BED40018
	s_mov_b32 s85, s25                                         // 0000000030CC: BED50019
	s_mov_b32 s86, s26                                         // 0000000030D0: BED6001A
	s_mov_b32 s87, s27                                         // 0000000030D4: BED7001B
	s_mul_i32 s60, s69, s65                                    // 0000000030D8: 923C4145
	s_add_u32 s84, s60, s84                                    // 0000000030DC: 8054543C
	s_addc_u32 s85, 0, s85                                     // 0000000030E0: 82555580
	v_lshrrev_b32_e32 v4, 4, v0                                // 0000000030E4: 20080084
	v_lshlrev_b32_e32 v5, 2, v4                                // 0000000030E8: 240A0882
	v_and_b32_e32 v4, 15, v0                                   // 0000000030EC: 2608008F
	v_lshrrev_b32_e32 v6, 2, v4                                // 0000000030F0: 200C0882
	v_lshlrev_b32_e32 v6, 6, v6                                // 0000000030F4: 240C0C86
	v_add_u32_e32 v5, v6, v5                                   // 0000000030F8: 680A0B06
	v_and_b32_e32 v4, 3, v0                                    // 0000000030FC: 26080083
	v_add_u32_e32 v5, v4, v5                                   // 000000003100: 680A0B04
	v_lshlrev_b32_e32 v22, 2, v5                               // 000000003104: 242C0A82
	v_add_u32_e32 v23, 0x400, v22                              // 000000003108: 682E2CFF 00000400
	s_mul_i32 s60, s7, 16                                      // 000000003110: 923C9007
	s_mul_i32 s60, s60, 4                                      // 000000003114: 923C843C
	v_add_u32_e32 v22, s60, v22                                // 000000003118: 682C2C3C
	v_add_u32_e32 v23, s60, v23                                // 00000000311C: 682E2E3C
	s_mul_i32 s60, s2, 0x200                                   // 000000003120: 923CFF02 00000200
	s_mul_i32 s60, s60, 4                                      // 000000003128: 923C843C
	s_mul_i32 s61, s5, s74                                     // 00000000312C: 923D4A05
	s_add_u32 s61, s61, s60                                    // 000000003130: 803D3C3D
	s_add_u32 s32, s61, s32                                    // 000000003134: 8020203D
	s_addc_u32 s33, 0, s33                                     // 000000003138: 82212180
	s_mov_b32 s57, 0x80                                        // 00000000313C: BEB900FF 00000080
	s_mov_b32 s58, 0x800                                       // 000000003144: BEBA00FF 00000800
	s_mov_b32 s83, s58                                         // 00000000314C: BED3003A
	s_mov_b32 s52, 0x7060302                                   // 000000003150: BEB400FF 07060302
	s_mov_b32 s53, 0x400                                       // 000000003158: BEB500FF 00000400
	s_mov_b32 s54, 0x40100                                     // 000000003160: BEB600FF 00040100
	s_mov_b32 s55, 0x4020100                                   // 000000003168: BEB700FF 04020100
	s_mov_b32 s6, 0x3fb8aa3b                                   // 000000003170: BE8600FF 3FB8AA3B
	s_mov_b32 s78, 0xbd92220c                                  // 000000003178: BECE00FF BD92220C
	s_mov_b32 s79, 0xbd92220c                                  // 000000003180: BECF00FF BD92220C
	s_mov_b32 m0, s48                                          // 000000003188: BEFC0030
	v_mov_b32_e32 v1, 0xbfcc4231                               // 00000000318C: 7E0202FF BFCC4231
	v_mov_b32_e32 v17, 0xffff0000                              // 000000003194: 7E2202FF FFFF0000
	v_mov_b32_e32 v18, 0x7fff0000                              // 00000000319C: 7E2402FF 7FFF0000
	v_mov_b32_e32 v19, 0x7fff                                  // 0000000031A4: 7E2602FF 00007FFF
	s_waitcnt vmcnt(0) expcnt(0) lgkmcnt(0)                    // 0000000031AC: BF8C0000
	s_mul_i32 s60, s3, 48                                      // 0000000031B0: 923CB003
	s_mul_i32 s60, 4, s60                                      // 0000000031B4: 923C3C84
	s_add_u32 s40, s60, s40                                    // 0000000031B8: 8028283C
	s_addc_u32 s41, 0, s41                                     // 0000000031BC: 82292980
	v_and_b32_e32 v4, 15, v0                                   // 0000000031C0: 2608008F
	v_lshlrev_b32_e32 v4, 2, v4                                // 0000000031C4: 24080882
	buffer_load_dword v248, v4, s[40:43], 0 offen              // 0000000031C8: E0501000 800AF804
	buffer_load_dword v249, v4, s[40:43], 0 offen offset:64    // 0000000031D0: E0501040 800AF904
	buffer_load_dword v250, v4, s[40:43], 0 offen offset:128   // 0000000031D8: E0501080 800AFA04
	v_lshrrev_b32_e32 v4, 5, v0                                // 0000000031E0: 20080085
	v_xor_b32_e32 v5, 1, v4                                    // 0000000031E4: 2A0A0881
	v_readlane_b32 s82, v3, 0                                  // 0000000031E8: D2890052 00010103
	s_and_b32 s82, s82, 0xffffff                               // 0000000031F0: 8652FF52 00FFFFFF
	v_mul_lo_u32 v6, v5, s82                                   // 0000000031F8: D2850006 0000A505
	v_readlane_b32 s82, v3, 1                                  // 000000003200: D2890052 00010303
	s_and_b32 s82, s82, 0xffffff                               // 000000003208: 8652FF52 00FFFFFF
	v_mul_lo_u32 v7, v4, s82                                   // 000000003210: D2850007 0000A504
	v_add_u32_e32 v41, v6, v7                                  // 000000003218: 68520F06
	v_mul_lo_u32 v41, v41, s68                                 // 00000000321C: D2850029 00008929
	v_readlane_b32 s82, v3, 2                                  // 000000003224: D2890052 00010503
	s_and_b32 s82, s82, 0xffffff                               // 00000000322C: 8652FF52 00FFFFFF
	v_mul_lo_u32 v6, v5, s82                                   // 000000003234: D2850006 0000A505
	v_readlane_b32 s82, v3, 3                                  // 00000000323C: D2890052 00010703
	s_and_b32 s82, s82, 0xffffff                               // 000000003244: 8652FF52 00FFFFFF
	v_mul_lo_u32 v7, v4, s82                                   // 00000000324C: D2850007 0000A504
	v_add_u32_e32 v42, v6, v7                                  // 000000003254: 68540F06
	v_mul_lo_u32 v42, v42, s68                                 // 000000003258: D285002A 0000892A
	v_readlane_b32 s82, v3, 4                                  // 000000003260: D2890052 00010903
	s_and_b32 s82, s82, 0xffffff                               // 000000003268: 8652FF52 00FFFFFF
	v_mul_lo_u32 v6, v5, s82                                   // 000000003270: D2850006 0000A505
	v_readlane_b32 s82, v3, 5                                  // 000000003278: D2890052 00010B03
	s_and_b32 s82, s82, 0xffffff                               // 000000003280: 8652FF52 00FFFFFF
	v_mul_lo_u32 v7, v4, s82                                   // 000000003288: D2850007 0000A504
	v_add_u32_e32 v43, v6, v7                                  // 000000003290: 68560F06
	v_mul_lo_u32 v43, v43, s68                                 // 000000003294: D285002B 0000892B
	v_readlane_b32 s82, v3, 6                                  // 00000000329C: D2890052 00010D03
	s_and_b32 s82, s82, 0xffffff                               // 0000000032A4: 8652FF52 00FFFFFF
	v_mul_lo_u32 v6, v5, s82                                   // 0000000032AC: D2850006 0000A505
	v_readlane_b32 s82, v3, 7                                  // 0000000032B4: D2890052 00010F03
	s_and_b32 s82, s82, 0xffffff                               // 0000000032BC: 8652FF52 00FFFFFF
	v_mul_lo_u32 v7, v4, s82                                   // 0000000032C4: D2850007 0000A504
	v_add_u32_e32 v44, v6, v7                                  // 0000000032CC: 68580F06
	v_mul_lo_u32 v44, v44, s68                                 // 0000000032D0: D285002C 0000892C
	v_readlane_b32 s82, v3, 8                                  // 0000000032D8: D2890052 00011103
	s_and_b32 s82, s82, 0xffffff                               // 0000000032E0: 8652FF52 00FFFFFF
	v_mul_lo_u32 v6, v5, s82                                   // 0000000032E8: D2850006 0000A505
	v_readlane_b32 s82, v3, 9                                  // 0000000032F0: D2890052 00011303
	s_and_b32 s82, s82, 0xffffff                               // 0000000032F8: 8652FF52 00FFFFFF
	v_mul_lo_u32 v7, v4, s82                                   // 000000003300: D2850007 0000A504
	v_add_u32_e32 v45, v6, v7                                  // 000000003308: 685A0F06
	v_mul_lo_u32 v45, v45, s68                                 // 00000000330C: D285002D 0000892D
	v_readlane_b32 s82, v3, 10                                 // 000000003314: D2890052 00011503
	s_and_b32 s82, s82, 0xffffff                               // 00000000331C: 8652FF52 00FFFFFF
	v_mul_lo_u32 v6, v5, s82                                   // 000000003324: D2850006 0000A505
	v_readlane_b32 s82, v3, 11                                 // 00000000332C: D2890052 00011703
	s_and_b32 s82, s82, 0xffffff                               // 000000003334: 8652FF52 00FFFFFF
	v_mul_lo_u32 v7, v4, s82                                   // 00000000333C: D2850007 0000A504
	v_add_u32_e32 v46, v6, v7                                  // 000000003344: 685C0F06
	v_mul_lo_u32 v46, v46, s68                                 // 000000003348: D285002E 0000892E
	v_and_b32_e32 v4, 31, v0                                   // 000000003350: 2608009F
	v_lshlrev_b32_e32 v4, 2, v4                                // 000000003354: 24080882
	v_add_u32_e32 v41, v41, v4                                 // 000000003358: 68520929
	v_add_u32_e32 v42, v42, v4                                 // 00000000335C: 6854092A
	v_add_u32_e32 v43, v43, v4                                 // 000000003360: 6856092B
	v_add_u32_e32 v44, v44, v4                                 // 000000003364: 6858092C
	v_add_u32_e32 v45, v45, v4                                 // 000000003368: 685A092D
	v_add_u32_e32 v46, v46, v4                                 // 00000000336C: 685C092E
	v_and_b32_e32 v29, 0xffffff, v29                           // 000000003370: 263A3AFF 00FFFFFF
	v_lshlrev_b32_e32 v29, 2, v29                              // 000000003378: 243A3A82
	v_and_b32_e32 v30, 0xffffff, v30                           // 00000000337C: 263C3CFF 00FFFFFF
	v_lshlrev_b32_e32 v30, 2, v30                              // 000000003384: 243C3C82
	v_and_b32_e32 v31, 0xffffff, v31                           // 000000003388: 263E3EFF 00FFFFFF
	v_lshlrev_b32_e32 v31, 2, v31                              // 000000003390: 243E3E82
	s_lshl_b32 s3, s66, 2                                      // 000000003394: 8E038242
	buffer_load_dword v32, v29, s[28:31], 0 offen              // 000000003398: E0501000 8007201D
	buffer_load_dword v33, v30, s[28:31], 0 offen              // 0000000033A0: E0501000 8007211E
	buffer_load_dword v34, v31, s[28:31], 0 offen              // 0000000033A8: E0501000 8007221F
	buffer_load_dword v25, v22, s[32:35], 0 offen              // 0000000033B0: E0501000 80081916
	buffer_load_dword v26, v23, s[32:35], 0 offen              // 0000000033B8: E0501000 80081A17
	s_mul_i32 s60, 4, s65                                      // 0000000033C0: 923C4184
	s_add_u32 s32, s60, s32                                    // 0000000033C4: 8020203C
	s_addc_u32 s33, 0, s33                                     // 0000000033C8: 82212180
	buffer_load_dword v27, v22, s[32:35], 0 offen              // 0000000033CC: E0501000 80081B16
	buffer_load_dword v28, v23, s[32:35], 0 offen              // 0000000033D4: E0501000 80081C17
	buffer_load_dword v41, s[20:23], 0 offen lds               // 0000000033DC: E0511000 80050029
	s_add_u32 m0, 0x100, s48                                   // 0000000033E4: 807C30FF 00000100
	buffer_load_dword v42, s[20:23], 0 offen lds               // 0000000033EC: E0511000 8005002A
	s_add_u32 m0, 0x200, s48                                   // 0000000033F4: 807C30FF 00000200
	buffer_load_dword v43, s[20:23], 0 offen lds               // 0000000033FC: E0511000 8005002B
	s_add_u32 m0, 0x300, s48                                   // 000000003404: 807C30FF 00000300
	buffer_load_dword v44, s[20:23], 0 offen lds               // 00000000340C: E0511000 8005002C
	s_add_u32 m0, 0x400, s48                                   // 000000003414: 807C30FF 00000400
	buffer_load_dword v45, s[20:23], 0 offen lds               // 00000000341C: E0511000 8005002D
	s_add_u32 m0, 0x500, s48                                   // 000000003424: 807C30FF 00000500
	buffer_load_dword v46, s[20:23], 0 offen lds               // 00000000342C: E0511000 8005002E
	s_add_u32 m0, 0, s49                                       // 000000003434: 807C3180
	s_add_u32 s20, s57, s20                                    // 000000003438: 80141439
	s_addc_u32 s21, 0, s21                                     // 00000000343C: 82151580
	buffer_load_dword v41, s[20:23], 0 offen lds               // 000000003440: E0511000 80050029
	s_add_u32 m0, 0x100, s49                                   // 000000003448: 807C31FF 00000100
	buffer_load_dword v42, s[20:23], 0 offen lds               // 000000003450: E0511000 8005002A
	s_add_u32 m0, 0x200, s49                                   // 000000003458: 807C31FF 00000200
	buffer_load_dword v43, s[20:23], 0 offen lds               // 000000003460: E0511000 8005002B
	s_add_u32 m0, 0x300, s49                                   // 000000003468: 807C31FF 00000300
	buffer_load_dword v44, s[20:23], 0 offen lds               // 000000003470: E0511000 8005002C
	s_add_u32 m0, 0x400, s49                                   // 000000003478: 807C31FF 00000400
	buffer_load_dword v45, s[20:23], 0 offen lds               // 000000003480: E0511000 8005002D
	s_add_u32 m0, 0x500, s49                                   // 000000003488: 807C31FF 00000500
	buffer_load_dword v46, s[20:23], 0 offen lds               // 000000003490: E0511000 8005002E
	s_add_u32 m0, 0, s48                                       // 000000003498: 807C3080
	s_add_u32 s20, s57, s20                                    // 00000000349C: 80141439
	s_addc_u32 s21, 0, s21                                     // 0000000034A0: 82151580
	buffer_load_dwordx4 a[48:51], v47, s[24:27], 0 offen       // 0000000034A4: E05C1000 8086302F
	buffer_load_dwordx4 a[52:55], v47, s[24:27], 0 offen offset:1024// 0000000034AC: E05C1400 8086342F
	buffer_load_dwordx4 a[56:59], v48, s[24:27], 0 offen       // 0000000034B4: E05C1000 80863830
	buffer_load_dwordx4 a[60:63], v48, s[24:27], 0 offen offset:1024// 0000000034BC: E05C1400 80863C30
	buffer_load_dwordx4 a[64:67], v49, s[24:27], 0 offen       // 0000000034C4: E05C1000 80864031
	buffer_load_dwordx4 a[68:71], v49, s[24:27], 0 offen offset:1024// 0000000034CC: E05C1400 80864431
	buffer_load_dwordx4 a[72:75], v50, s[24:27], 0 offen       // 0000000034D4: E05C1000 80864832
	buffer_load_dwordx4 a[76:79], v50, s[24:27], 0 offen offset:1024// 0000000034DC: E05C1400 80864C32
	buffer_load_dwordx4 a[80:83], v51, s[24:27], 0 offen       // 0000000034E4: E05C1000 80865033
	buffer_load_dwordx4 a[84:87], v51, s[24:27], 0 offen offset:1024// 0000000034EC: E05C1400 80865433
	buffer_load_dwordx4 a[88:91], v52, s[24:27], 0 offen       // 0000000034F4: E05C1000 80865834
	buffer_load_dwordx4 a[92:95], v52, s[24:27], 0 offen offset:1024// 0000000034FC: E05C1400 80865C34
	buffer_load_dwordx4 a[96:99], v53, s[24:27], 0 offen       // 000000003504: E05C1000 80866035
	buffer_load_dwordx4 a[100:103], v53, s[24:27], 0 offen offset:1024// 00000000350C: E05C1400 80866435
	buffer_load_dwordx4 a[104:107], v54, s[24:27], 0 offen     // 000000003514: E05C1000 80866836
	buffer_load_dwordx4 a[108:111], v54, s[24:27], 0 offen offset:1024// 00000000351C: E05C1400 80866C36
	s_add_u32 s24, s58, s24                                    // 000000003524: 8018183A
	s_addc_u32 s25, 0, s25                                     // 000000003528: 82191980
	s_waitcnt vmcnt(22)                                        // 00000000352C: BF8C4F76
	s_barrier                                                  // 000000003530: BF8A0000
	ds_read_b128 a[0:3], v2                                    // 000000003534: DBFE0000 00000002
	ds_read_b128 a[4:7], v2 offset:64                          // 00000000353C: DBFE0040 04000002
	ds_read_b128 a[8:11], v2 offset:512                        // 000000003544: DBFE0200 08000002
	ds_read_b128 a[12:15], v2 offset:576                       // 00000000354C: DBFE0240 0C000002
	ds_read_b128 a[16:19], v2 offset:1024                      // 000000003554: DBFE0400 10000002
	ds_read_b128 a[20:23], v2 offset:1088                      // 00000000355C: DBFE0440 14000002
	s_cmp_lt_i32 s7, 2                                         // 000000003564: BF048207
	s_cbranch_scc0 label_1A71                                  // 000000003568: BF841793

000000000000356c <label_02DB>:
	s_waitcnt vmcnt(14) lgkmcnt(0)                             // 00000000356C: BF8C007E
	s_barrier                                                  // 000000003570: BF8A0000
	v_mfma_f32_16x16x32_fp8_fp8 v[56:59], a[48:49], a[0:1], v[56:59]// 000000003574: D3F30038 1CE20130
	v_mfma_f32_16x16x32_fp8_fp8 v[56:59], a[50:51], a[2:3], v[56:59]// 00000000357C: D3F30038 1CE20532
	buffer_load_dwordx4 a[112:115], v47, s[84:87], 0 offen     // 000000003584: E05C1000 8095702F
	v_mfma_f32_16x16x32_fp8_fp8 v[56:59], a[52:53], a[4:5], v[56:59]// 00000000358C: D3F30038 1CE20934
	v_mfma_f32_16x16x32_fp8_fp8 v[56:59], a[54:55], a[6:7], v[56:59]// 000000003594: D3F30038 1CE20D36
	v_mfma_f32_16x16x32_fp8_fp8 v[60:63], a[48:49], a[8:9], v[60:63]// 00000000359C: D3F3003C 1CF21130
	v_mfma_f32_16x16x32_fp8_fp8 v[60:63], a[50:51], a[10:11], v[60:63]// 0000000035A4: D3F3003C 1CF21532
	buffer_load_dwordx4 a[116:119], v47, s[84:87], 0 offen offset:1024// 0000000035AC: E05C1400 8095742F
	v_mfma_f32_16x16x32_fp8_fp8 v[60:63], a[52:53], a[12:13], v[60:63]// 0000000035B4: D3F3003C 1CF21934
	v_mfma_f32_16x16x32_fp8_fp8 v[60:63], a[54:55], a[14:15], v[60:63]// 0000000035BC: D3F3003C 1CF21D36
	v_mfma_f32_16x16x32_fp8_fp8 v[64:67], a[48:49], a[16:17], v[64:67]// 0000000035C4: D3F30040 1D022130
	v_mfma_f32_16x16x32_fp8_fp8 v[64:67], a[50:51], a[18:19], v[64:67]// 0000000035CC: D3F30040 1D022532
	buffer_load_dwordx4 a[120:123], v48, s[84:87], 0 offen     // 0000000035D4: E05C1000 80957830
	v_mfma_f32_16x16x32_fp8_fp8 v[64:67], a[52:53], a[20:21], v[64:67]// 0000000035DC: D3F30040 1D022934
	v_mfma_f32_16x16x32_fp8_fp8 v[64:67], a[54:55], a[22:23], v[64:67]// 0000000035E4: D3F30040 1D022D36
	s_waitcnt vmcnt(15)                                        // 0000000035EC: BF8C0F7F
	v_mfma_f32_16x16x32_fp8_fp8 v[68:71], a[56:57], a[0:1], v[68:71]// 0000000035F0: D3F30044 1D120138
	v_mfma_f32_16x16x32_fp8_fp8 v[68:71], a[58:59], a[2:3], v[68:71]// 0000000035F8: D3F30044 1D12053A
	buffer_load_dwordx4 a[124:127], v48, s[84:87], 0 offen offset:1024// 000000003600: E05C1400 80957C30
	v_mfma_f32_16x16x32_fp8_fp8 v[68:71], a[60:61], a[4:5], v[68:71]// 000000003608: D3F30044 1D12093C
	v_mfma_f32_16x16x32_fp8_fp8 v[68:71], a[62:63], a[6:7], v[68:71]// 000000003610: D3F30044 1D120D3E
	v_mfma_f32_16x16x32_fp8_fp8 v[72:75], a[56:57], a[8:9], v[72:75]// 000000003618: D3F30048 1D221138
	v_mfma_f32_16x16x32_fp8_fp8 v[72:75], a[58:59], a[10:11], v[72:75]// 000000003620: D3F30048 1D22153A
	buffer_load_dwordx4 a[128:131], v49, s[84:87], 0 offen     // 000000003628: E05C1000 80958031
	v_mfma_f32_16x16x32_fp8_fp8 v[72:75], a[60:61], a[12:13], v[72:75]// 000000003630: D3F30048 1D22193C
	v_mfma_f32_16x16x32_fp8_fp8 v[72:75], a[62:63], a[14:15], v[72:75]// 000000003638: D3F30048 1D221D3E
	v_mfma_f32_16x16x32_fp8_fp8 v[76:79], a[56:57], a[16:17], v[76:79]// 000000003640: D3F3004C 1D322138
	v_mfma_f32_16x16x32_fp8_fp8 v[76:79], a[58:59], a[18:19], v[76:79]// 000000003648: D3F3004C 1D32253A
	buffer_load_dwordx4 a[132:135], v49, s[84:87], 0 offen offset:1024// 000000003650: E05C1400 80958431
	v_mfma_f32_16x16x32_fp8_fp8 v[76:79], a[60:61], a[20:21], v[76:79]// 000000003658: D3F3004C 1D32293C
	v_mfma_f32_16x16x32_fp8_fp8 v[76:79], a[62:63], a[22:23], v[76:79]// 000000003660: D3F3004C 1D322D3E
	s_waitcnt vmcnt(16)                                        // 000000003668: BF8C4F70
	v_mfma_f32_16x16x32_fp8_fp8 v[80:83], a[64:65], a[0:1], v[80:83]// 00000000366C: D3F30050 1D420140
	v_mfma_f32_16x16x32_fp8_fp8 v[80:83], a[66:67], a[2:3], v[80:83]// 000000003674: D3F30050 1D420542
	buffer_load_dwordx4 a[136:139], v50, s[84:87], 0 offen     // 00000000367C: E05C1000 80958832
	v_mfma_f32_16x16x32_fp8_fp8 v[80:83], a[68:69], a[4:5], v[80:83]// 000000003684: D3F30050 1D420944
	v_mfma_f32_16x16x32_fp8_fp8 v[80:83], a[70:71], a[6:7], v[80:83]// 00000000368C: D3F30050 1D420D46
	v_mfma_f32_16x16x32_fp8_fp8 v[84:87], a[64:65], a[8:9], v[84:87]// 000000003694: D3F30054 1D521140
	v_mfma_f32_16x16x32_fp8_fp8 v[84:87], a[66:67], a[10:11], v[84:87]// 00000000369C: D3F30054 1D521542
	buffer_load_dwordx4 a[140:143], v50, s[84:87], 0 offen offset:1024// 0000000036A4: E05C1400 80958C32
	v_mfma_f32_16x16x32_fp8_fp8 v[84:87], a[68:69], a[12:13], v[84:87]// 0000000036AC: D3F30054 1D521944
	v_mfma_f32_16x16x32_fp8_fp8 v[84:87], a[70:71], a[14:15], v[84:87]// 0000000036B4: D3F30054 1D521D46
	v_mfma_f32_16x16x32_fp8_fp8 v[88:91], a[64:65], a[16:17], v[88:91]// 0000000036BC: D3F30058 1D622140
	v_mfma_f32_16x16x32_fp8_fp8 v[88:91], a[66:67], a[18:19], v[88:91]// 0000000036C4: D3F30058 1D622542
	buffer_load_dwordx4 a[144:147], v51, s[84:87], 0 offen     // 0000000036CC: E05C1000 80959033
	v_mfma_f32_16x16x32_fp8_fp8 v[88:91], a[68:69], a[20:21], v[88:91]// 0000000036D4: D3F30058 1D622944
	v_mfma_f32_16x16x32_fp8_fp8 v[88:91], a[70:71], a[22:23], v[88:91]// 0000000036DC: D3F30058 1D622D46
	s_waitcnt vmcnt(17)                                        // 0000000036E4: BF8C4F71
	v_mfma_f32_16x16x32_fp8_fp8 v[92:95], a[72:73], a[0:1], v[92:95]// 0000000036E8: D3F3005C 1D720148
	v_mfma_f32_16x16x32_fp8_fp8 v[92:95], a[74:75], a[2:3], v[92:95]// 0000000036F0: D3F3005C 1D72054A
	buffer_load_dwordx4 a[148:151], v51, s[84:87], 0 offen offset:1024// 0000000036F8: E05C1400 80959433
	v_mfma_f32_16x16x32_fp8_fp8 v[92:95], a[76:77], a[4:5], v[92:95]// 000000003700: D3F3005C 1D72094C
	v_mfma_f32_16x16x32_fp8_fp8 v[92:95], a[78:79], a[6:7], v[92:95]// 000000003708: D3F3005C 1D720D4E
	v_mfma_f32_16x16x32_fp8_fp8 v[96:99], a[72:73], a[8:9], v[96:99]// 000000003710: D3F30060 1D821148
	v_mfma_f32_16x16x32_fp8_fp8 v[96:99], a[74:75], a[10:11], v[96:99]// 000000003718: D3F30060 1D82154A
	buffer_load_dwordx4 a[152:155], v52, s[84:87], 0 offen     // 000000003720: E05C1000 80959834
	v_mfma_f32_16x16x32_fp8_fp8 v[96:99], a[76:77], a[12:13], v[96:99]// 000000003728: D3F30060 1D82194C
	v_mfma_f32_16x16x32_fp8_fp8 v[96:99], a[78:79], a[14:15], v[96:99]// 000000003730: D3F30060 1D821D4E
	v_mfma_f32_16x16x32_fp8_fp8 v[100:103], a[72:73], a[16:17], v[100:103]// 000000003738: D3F30064 1D922148
	v_mfma_f32_16x16x32_fp8_fp8 v[100:103], a[74:75], a[18:19], v[100:103]// 000000003740: D3F30064 1D92254A
	buffer_load_dwordx4 a[156:159], v52, s[84:87], 0 offen offset:1024// 000000003748: E05C1400 80959C34
	v_mfma_f32_16x16x32_fp8_fp8 v[100:103], a[76:77], a[20:21], v[100:103]// 000000003750: D3F30064 1D92294C
	v_mfma_f32_16x16x32_fp8_fp8 v[100:103], a[78:79], a[22:23], v[100:103]// 000000003758: D3F30064 1D922D4E
	s_waitcnt vmcnt(18)                                        // 000000003760: BF8C4F72
	v_mfma_f32_16x16x32_fp8_fp8 v[104:107], a[80:81], a[0:1], v[104:107]// 000000003764: D3F30068 1DA20150
	v_mfma_f32_16x16x32_fp8_fp8 v[104:107], a[82:83], a[2:3], v[104:107]// 00000000376C: D3F30068 1DA20552
	buffer_load_dwordx4 a[160:163], v53, s[84:87], 0 offen     // 000000003774: E05C1000 8095A035
	v_mfma_f32_16x16x32_fp8_fp8 v[104:107], a[84:85], a[4:5], v[104:107]// 00000000377C: D3F30068 1DA20954
	v_mfma_f32_16x16x32_fp8_fp8 v[104:107], a[86:87], a[6:7], v[104:107]// 000000003784: D3F30068 1DA20D56
	v_mfma_f32_16x16x32_fp8_fp8 v[108:111], a[80:81], a[8:9], v[108:111]// 00000000378C: D3F3006C 1DB21150
	v_mfma_f32_16x16x32_fp8_fp8 v[108:111], a[82:83], a[10:11], v[108:111]// 000000003794: D3F3006C 1DB21552
	buffer_load_dwordx4 a[164:167], v53, s[84:87], 0 offen offset:1024// 00000000379C: E05C1400 8095A435
	v_mfma_f32_16x16x32_fp8_fp8 v[108:111], a[84:85], a[12:13], v[108:111]// 0000000037A4: D3F3006C 1DB21954
	v_mfma_f32_16x16x32_fp8_fp8 v[108:111], a[86:87], a[14:15], v[108:111]// 0000000037AC: D3F3006C 1DB21D56
	v_mfma_f32_16x16x32_fp8_fp8 v[112:115], a[80:81], a[16:17], v[112:115]// 0000000037B4: D3F30070 1DC22150
	v_mfma_f32_16x16x32_fp8_fp8 v[112:115], a[82:83], a[18:19], v[112:115]// 0000000037BC: D3F30070 1DC22552
	buffer_load_dwordx4 a[168:171], v54, s[84:87], 0 offen     // 0000000037C4: E05C1000 8095A836
	v_mfma_f32_16x16x32_fp8_fp8 v[112:115], a[84:85], a[20:21], v[112:115]// 0000000037CC: D3F30070 1DC22954
	v_mfma_f32_16x16x32_fp8_fp8 v[112:115], a[86:87], a[22:23], v[112:115]// 0000000037D4: D3F30070 1DC22D56
	s_waitcnt vmcnt(19)                                        // 0000000037DC: BF8C4F73
	v_mfma_f32_16x16x32_fp8_fp8 v[116:119], a[88:89], a[0:1], v[116:119]// 0000000037E0: D3F30074 1DD20158
	v_mfma_f32_16x16x32_fp8_fp8 v[116:119], a[90:91], a[2:3], v[116:119]// 0000000037E8: D3F30074 1DD2055A
	buffer_load_dwordx4 a[172:175], v54, s[84:87], 0 offen offset:1024// 0000000037F0: E05C1400 8095AC36
	buffer_load_dword v41, s[20:23], 0 offen lds               // 0000000037F8: E0511000 80050029
	s_add_u32 m0, 0x100, s48                                   // 000000003800: 807C30FF 00000100
	v_mfma_f32_16x16x32_fp8_fp8 v[116:119], a[92:93], a[4:5], v[116:119]// 000000003808: D3F30074 1DD2095C
	v_mfma_f32_16x16x32_fp8_fp8 v[116:119], a[94:95], a[6:7], v[116:119]// 000000003810: D3F30074 1DD20D5E
	buffer_load_dword v42, s[20:23], 0 offen lds               // 000000003818: E0511000 8005002A
	s_add_u32 m0, 0x200, s48                                   // 000000003820: 807C30FF 00000200
	v_mfma_f32_16x16x32_fp8_fp8 v[120:123], a[88:89], a[8:9], v[120:123]// 000000003828: D3F30078 1DE21158
	v_mfma_f32_16x16x32_fp8_fp8 v[120:123], a[90:91], a[10:11], v[120:123]// 000000003830: D3F30078 1DE2155A
	buffer_load_dword v43, s[20:23], 0 offen lds               // 000000003838: E0511000 8005002B
	s_add_u32 m0, 0x300, s48                                   // 000000003840: 807C30FF 00000300
	v_mfma_f32_16x16x32_fp8_fp8 v[120:123], a[92:93], a[12:13], v[120:123]// 000000003848: D3F30078 1DE2195C
	v_mfma_f32_16x16x32_fp8_fp8 v[120:123], a[94:95], a[14:15], v[120:123]// 000000003850: D3F30078 1DE21D5E
	buffer_load_dword v44, s[20:23], 0 offen lds               // 000000003858: E0511000 8005002C
	s_add_u32 m0, 0x400, s48                                   // 000000003860: 807C30FF 00000400
	v_mfma_f32_16x16x32_fp8_fp8 v[124:127], a[88:89], a[16:17], v[124:127]// 000000003868: D3F3007C 1DF22158
	v_mfma_f32_16x16x32_fp8_fp8 v[124:127], a[90:91], a[18:19], v[124:127]// 000000003870: D3F3007C 1DF2255A
	buffer_load_dword v45, s[20:23], 0 offen lds               // 000000003878: E0511000 8005002D
	s_add_u32 m0, 0x500, s48                                   // 000000003880: 807C30FF 00000500
	v_mfma_f32_16x16x32_fp8_fp8 v[124:127], a[92:93], a[20:21], v[124:127]// 000000003888: D3F3007C 1DF2295C
	v_mfma_f32_16x16x32_fp8_fp8 v[124:127], a[94:95], a[22:23], v[124:127]// 000000003890: D3F3007C 1DF22D5E
	buffer_load_dword v46, s[20:23], 0 offen lds               // 000000003898: E0511000 8005002E
	s_add_u32 m0, 0, s49                                       // 0000000038A0: 807C3180
	s_waitcnt vmcnt(24)                                        // 0000000038A4: BF8C4F78
	v_mfma_f32_16x16x32_fp8_fp8 v[128:131], a[96:97], a[0:1], v[128:131]// 0000000038A8: D3F30080 1E020160
	v_mfma_f32_16x16x32_fp8_fp8 v[128:131], a[98:99], a[2:3], v[128:131]// 0000000038B0: D3F30080 1E020562
	v_mfma_f32_16x16x32_fp8_fp8 v[128:131], a[100:101], a[4:5], v[128:131]// 0000000038B8: D3F30080 1E020964
	v_mfma_f32_16x16x32_fp8_fp8 v[128:131], a[102:103], a[6:7], v[128:131]// 0000000038C0: D3F30080 1E020D66
	v_mfma_f32_16x16x32_fp8_fp8 v[132:135], a[96:97], a[8:9], v[132:135]// 0000000038C8: D3F30084 1E121160
	v_mfma_f32_16x16x32_fp8_fp8 v[132:135], a[98:99], a[10:11], v[132:135]// 0000000038D0: D3F30084 1E121562
	v_mfma_f32_16x16x32_fp8_fp8 v[132:135], a[100:101], a[12:13], v[132:135]// 0000000038D8: D3F30084 1E121964
	v_mfma_f32_16x16x32_fp8_fp8 v[132:135], a[102:103], a[14:15], v[132:135]// 0000000038E0: D3F30084 1E121D66
	v_mfma_f32_16x16x32_fp8_fp8 v[136:139], a[96:97], a[16:17], v[136:139]// 0000000038E8: D3F30088 1E222160
	v_mfma_f32_16x16x32_fp8_fp8 v[136:139], a[98:99], a[18:19], v[136:139]// 0000000038F0: D3F30088 1E222562
	v_mfma_f32_16x16x32_fp8_fp8 v[136:139], a[100:101], a[20:21], v[136:139]// 0000000038F8: D3F30088 1E222964
	v_mfma_f32_16x16x32_fp8_fp8 v[136:139], a[102:103], a[22:23], v[136:139]// 000000003900: D3F30088 1E222D66
	s_waitcnt vmcnt(22)                                        // 000000003908: BF8C4F76
	v_mfma_f32_16x16x32_fp8_fp8 v[140:143], a[104:105], a[0:1], v[140:143]// 00000000390C: D3F3008C 1E320168
	v_mfma_f32_16x16x32_fp8_fp8 v[140:143], a[106:107], a[2:3], v[140:143]// 000000003914: D3F3008C 1E32056A
	v_mfma_f32_16x16x32_fp8_fp8 v[140:143], a[108:109], a[4:5], v[140:143]// 00000000391C: D3F3008C 1E32096C
	v_mfma_f32_16x16x32_fp8_fp8 v[140:143], a[110:111], a[6:7], v[140:143]// 000000003924: D3F3008C 1E320D6E
	v_mfma_f32_16x16x32_fp8_fp8 v[144:147], a[104:105], a[8:9], v[144:147]// 00000000392C: D3F30090 1E421168
	v_mfma_f32_16x16x32_fp8_fp8 v[144:147], a[106:107], a[10:11], v[144:147]// 000000003934: D3F30090 1E42156A
	v_mfma_f32_16x16x32_fp8_fp8 v[144:147], a[108:109], a[12:13], v[144:147]// 00000000393C: D3F30090 1E42196C
	v_mfma_f32_16x16x32_fp8_fp8 v[144:147], a[110:111], a[14:15], v[144:147]// 000000003944: D3F30090 1E421D6E
	v_mfma_f32_16x16x32_fp8_fp8 v[148:151], a[104:105], a[16:17], v[148:151]// 00000000394C: D3F30094 1E522168
	v_mfma_f32_16x16x32_fp8_fp8 v[148:151], a[106:107], a[18:19], v[148:151]// 000000003954: D3F30094 1E52256A
	s_add_u32 s60, 0x80, s80                                   // 00000000395C: 803C50FF 00000080
	s_cmp_lt_u32 s60, s81                                      // 000000003964: BF0A513C
	s_cselect_b32 s83, s83, 0                                  // 000000003968: 85538053
	v_mfma_f32_16x16x32_fp8_fp8 v[148:151], a[108:109], a[20:21], v[148:151]// 00000000396C: D3F30094 1E52296C
	v_mfma_f32_16x16x32_fp8_fp8 v[148:151], a[110:111], a[22:23], v[148:151]// 000000003974: D3F30094 1E522D6E
	s_waitcnt vmcnt(6)                                         // 00000000397C: BF8C0F76
	v_mfma_f32_16x16x32_fp8_fp8 v[152:155], a[112:113], a[0:1], v[152:155]// 000000003980: D3F30098 1E620170
	v_mfma_f32_16x16x32_fp8_fp8 v[152:155], a[114:115], a[2:3], v[152:155]// 000000003988: D3F30098 1E620572
	buffer_load_dwordx4 a[48:51], v47, s[24:27], 0 offen       // 000000003990: E05C1000 8086302F
	v_mfma_f32_16x16x32_fp8_fp8 v[152:155], a[116:117], a[4:5], v[152:155]// 000000003998: D3F30098 1E620974
	v_mfma_f32_16x16x32_fp8_fp8 v[152:155], a[118:119], a[6:7], v[152:155]// 0000000039A0: D3F30098 1E620D76
	ds_read_b128 a[24:27], v2 offset:6272                      // 0000000039A8: DBFE1880 18000002
	ds_read_b128 a[28:31], v2 offset:6336                      // 0000000039B0: DBFE18C0 1C000002
	v_mfma_f32_16x16x32_fp8_fp8 v[164:167], a[120:121], a[0:1], v[164:167]// 0000000039B8: D3F300A4 1E920178
	v_mfma_f32_16x16x32_fp8_fp8 v[164:167], a[122:123], a[2:3], v[164:167]// 0000000039C0: D3F300A4 1E92057A
	buffer_load_dwordx4 a[52:55], v47, s[24:27], 0 offen offset:1024// 0000000039C8: E05C1400 8086342F
	v_mfma_f32_16x16x32_fp8_fp8 v[164:167], a[124:125], a[4:5], v[164:167]// 0000000039D0: D3F300A4 1E92097C
	v_mfma_f32_16x16x32_fp8_fp8 v[164:167], a[126:127], a[6:7], v[164:167]// 0000000039D8: D3F300A4 1E920D7E
	ds_read_b128 a[32:35], v2 offset:6784                      // 0000000039E0: DBFE1A80 20000002
	ds_read_b128 a[36:39], v2 offset:6848                      // 0000000039E8: DBFE1AC0 24000002
	v_mfma_f32_16x16x32_fp8_fp8 v[176:179], a[128:129], a[0:1], v[176:179]// 0000000039F0: D3F300B0 1EC20180
	v_mfma_f32_16x16x32_fp8_fp8 v[176:179], a[130:131], a[2:3], v[176:179]// 0000000039F8: D3F300B0 1EC20582
	buffer_load_dwordx4 a[56:59], v48, s[24:27], 0 offen       // 000000003A00: E05C1000 80863830
	v_mfma_f32_16x16x32_fp8_fp8 v[176:179], a[132:133], a[4:5], v[176:179]// 000000003A08: D3F300B0 1EC20984
	v_mfma_f32_16x16x32_fp8_fp8 v[176:179], a[134:135], a[6:7], v[176:179]// 000000003A10: D3F300B0 1EC20D86
	ds_read_b128 a[40:43], v2 offset:7296                      // 000000003A18: DBFE1C80 28000002
	ds_read_b128 a[44:47], v2 offset:7360                      // 000000003A20: DBFE1CC0 2C000002
	v_mfma_f32_16x16x32_fp8_fp8 v[188:191], a[136:137], a[0:1], v[188:191]// 000000003A28: D3F300BC 1EF20188
	v_mfma_f32_16x16x32_fp8_fp8 v[188:191], a[138:139], a[2:3], v[188:191]// 000000003A30: D3F300BC 1EF2058A
	buffer_load_dwordx4 a[60:63], v48, s[24:27], 0 offen offset:1024// 000000003A38: E05C1400 80863C30
	v_mfma_f32_16x16x32_fp8_fp8 v[188:191], a[140:141], a[4:5], v[188:191]// 000000003A40: D3F300BC 1EF2098C
	v_mfma_f32_16x16x32_fp8_fp8 v[188:191], a[142:143], a[6:7], v[188:191]// 000000003A48: D3F300BC 1EF20D8E
	v_mfma_f32_16x16x32_fp8_fp8 v[200:203], a[144:145], a[0:1], v[200:203]// 000000003A50: D3F300C8 1F220190
	v_mfma_f32_16x16x32_fp8_fp8 v[200:203], a[146:147], a[2:3], v[200:203]// 000000003A58: D3F300C8 1F220592
	buffer_load_dwordx4 a[64:67], v49, s[24:27], 0 offen       // 000000003A60: E05C1000 80864031
	v_mfma_f32_16x16x32_fp8_fp8 v[200:203], a[148:149], a[4:5], v[200:203]// 000000003A68: D3F300C8 1F220994
	v_mfma_f32_16x16x32_fp8_fp8 v[200:203], a[150:151], a[6:7], v[200:203]// 000000003A70: D3F300C8 1F220D96
	v_mfma_f32_16x16x32_fp8_fp8 v[212:215], a[152:153], a[0:1], v[212:215]// 000000003A78: D3F300D4 1F520198
	v_mfma_f32_16x16x32_fp8_fp8 v[212:215], a[154:155], a[2:3], v[212:215]// 000000003A80: D3F300D4 1F52059A
	buffer_load_dwordx4 a[68:71], v49, s[24:27], 0 offen offset:1024// 000000003A88: E05C1400 80864431
	v_mfma_f32_16x16x32_fp8_fp8 v[212:215], a[156:157], a[4:5], v[212:215]// 000000003A90: D3F300D4 1F52099C
	v_mfma_f32_16x16x32_fp8_fp8 v[212:215], a[158:159], a[6:7], v[212:215]// 000000003A98: D3F300D4 1F520D9E
	v_mfma_f32_16x16x32_fp8_fp8 v[224:227], a[160:161], a[0:1], v[224:227]// 000000003AA0: D3F300E0 1F8201A0
	v_mfma_f32_16x16x32_fp8_fp8 v[224:227], a[162:163], a[2:3], v[224:227]// 000000003AA8: D3F300E0 1F8205A2
	buffer_load_dwordx4 a[72:75], v50, s[24:27], 0 offen       // 000000003AB0: E05C1000 80864832
	v_mfma_f32_16x16x32_fp8_fp8 v[224:227], a[164:165], a[4:5], v[224:227]// 000000003AB8: D3F300E0 1F8209A4
	v_mfma_f32_16x16x32_fp8_fp8 v[224:227], a[166:167], a[6:7], v[224:227]// 000000003AC0: D3F300E0 1F820DA6
	v_mfma_f32_16x16x32_fp8_fp8 v[236:239], a[168:169], a[0:1], v[236:239]// 000000003AC8: D3F300EC 1FB201A8
	v_mfma_f32_16x16x32_fp8_fp8 v[236:239], a[170:171], a[2:3], v[236:239]// 000000003AD0: D3F300EC 1FB205AA
	buffer_load_dwordx4 a[76:79], v50, s[24:27], 0 offen offset:1024// 000000003AD8: E05C1400 80864C32
	v_mfma_f32_16x16x32_fp8_fp8 v[236:239], a[172:173], a[4:5], v[236:239]// 000000003AE0: D3F300EC 1FB209AC
	v_mfma_f32_16x16x32_fp8_fp8 v[236:239], a[174:175], a[6:7], v[236:239]// 000000003AE8: D3F300EC 1FB20DAE
	v_mfma_f32_16x16x32_fp8_fp8 v[156:159], a[112:113], a[8:9], v[156:159]// 000000003AF0: D3F3009C 1E721170
	v_mfma_f32_16x16x32_fp8_fp8 v[156:159], a[114:115], a[10:11], v[156:159]// 000000003AF8: D3F3009C 1E721572
	buffer_load_dwordx4 a[80:83], v51, s[24:27], 0 offen       // 000000003B00: E05C1000 80865033
	v_mfma_f32_16x16x32_fp8_fp8 v[156:159], a[116:117], a[12:13], v[156:159]// 000000003B08: D3F3009C 1E721974
	v_mfma_f32_16x16x32_fp8_fp8 v[156:159], a[118:119], a[14:15], v[156:159]// 000000003B10: D3F3009C 1E721D76
	v_mfma_f32_16x16x32_fp8_fp8 v[168:171], a[120:121], a[8:9], v[168:171]// 000000003B18: D3F300A8 1EA21178
	v_mfma_f32_16x16x32_fp8_fp8 v[168:171], a[122:123], a[10:11], v[168:171]// 000000003B20: D3F300A8 1EA2157A
	buffer_load_dwordx4 a[84:87], v51, s[24:27], 0 offen offset:1024// 000000003B28: E05C1400 80865433
	v_mfma_f32_16x16x32_fp8_fp8 v[168:171], a[124:125], a[12:13], v[168:171]// 000000003B30: D3F300A8 1EA2197C
	v_mfma_f32_16x16x32_fp8_fp8 v[168:171], a[126:127], a[14:15], v[168:171]// 000000003B38: D3F300A8 1EA21D7E
	v_mfma_f32_16x16x32_fp8_fp8 v[180:183], a[128:129], a[8:9], v[180:183]// 000000003B40: D3F300B4 1ED21180
	v_mfma_f32_16x16x32_fp8_fp8 v[180:183], a[130:131], a[10:11], v[180:183]// 000000003B48: D3F300B4 1ED21582
	buffer_load_dwordx4 a[88:91], v52, s[24:27], 0 offen       // 000000003B50: E05C1000 80865834
	v_mfma_f32_16x16x32_fp8_fp8 v[180:183], a[132:133], a[12:13], v[180:183]// 000000003B58: D3F300B4 1ED21984
	v_mfma_f32_16x16x32_fp8_fp8 v[180:183], a[134:135], a[14:15], v[180:183]// 000000003B60: D3F300B4 1ED21D86
	v_mfma_f32_16x16x32_fp8_fp8 v[192:195], a[136:137], a[8:9], v[192:195]// 000000003B68: D3F300C0 1F021188
	v_mfma_f32_16x16x32_fp8_fp8 v[192:195], a[138:139], a[10:11], v[192:195]// 000000003B70: D3F300C0 1F02158A
	buffer_load_dwordx4 a[92:95], v52, s[24:27], 0 offen offset:1024// 000000003B78: E05C1400 80865C34
	v_mfma_f32_16x16x32_fp8_fp8 v[192:195], a[140:141], a[12:13], v[192:195]// 000000003B80: D3F300C0 1F02198C
	v_mfma_f32_16x16x32_fp8_fp8 v[192:195], a[142:143], a[14:15], v[192:195]// 000000003B88: D3F300C0 1F021D8E
	v_mfma_f32_16x16x32_fp8_fp8 v[204:207], a[144:145], a[8:9], v[204:207]// 000000003B90: D3F300CC 1F321190
	v_mfma_f32_16x16x32_fp8_fp8 v[204:207], a[146:147], a[10:11], v[204:207]// 000000003B98: D3F300CC 1F321592
	buffer_load_dwordx4 a[96:99], v53, s[24:27], 0 offen       // 000000003BA0: E05C1000 80866035
	v_mfma_f32_16x16x32_fp8_fp8 v[204:207], a[148:149], a[12:13], v[204:207]// 000000003BA8: D3F300CC 1F321994
	v_mfma_f32_16x16x32_fp8_fp8 v[204:207], a[150:151], a[14:15], v[204:207]// 000000003BB0: D3F300CC 1F321D96
	v_mfma_f32_16x16x32_fp8_fp8 v[216:219], a[152:153], a[8:9], v[216:219]// 000000003BB8: D3F300D8 1F621198
	v_mfma_f32_16x16x32_fp8_fp8 v[216:219], a[154:155], a[10:11], v[216:219]// 000000003BC0: D3F300D8 1F62159A
	buffer_load_dwordx4 a[100:103], v53, s[24:27], 0 offen offset:1024// 000000003BC8: E05C1400 80866435
	v_mfma_f32_16x16x32_fp8_fp8 v[216:219], a[156:157], a[12:13], v[216:219]// 000000003BD0: D3F300D8 1F62199C
	v_mfma_f32_16x16x32_fp8_fp8 v[216:219], a[158:159], a[14:15], v[216:219]// 000000003BD8: D3F300D8 1F621D9E
	v_mfma_f32_16x16x32_fp8_fp8 v[228:231], a[160:161], a[8:9], v[228:231]// 000000003BE0: D3F300E4 1F9211A0
	v_mfma_f32_16x16x32_fp8_fp8 v[228:231], a[162:163], a[10:11], v[228:231]// 000000003BE8: D3F300E4 1F9215A2
	buffer_load_dwordx4 a[104:107], v54, s[24:27], 0 offen     // 000000003BF0: E05C1000 80866836
	v_mfma_f32_16x16x32_fp8_fp8 v[228:231], a[164:165], a[12:13], v[228:231]// 000000003BF8: D3F300E4 1F9219A4
	v_mfma_f32_16x16x32_fp8_fp8 v[228:231], a[166:167], a[14:15], v[228:231]// 000000003C00: D3F300E4 1F921DA6
	v_mfma_f32_16x16x32_fp8_fp8 v[240:243], a[168:169], a[8:9], v[240:243]// 000000003C08: D3F300F0 1FC211A8
	v_mfma_f32_16x16x32_fp8_fp8 v[240:243], a[170:171], a[10:11], v[240:243]// 000000003C10: D3F300F0 1FC215AA
	buffer_load_dwordx4 a[108:111], v54, s[24:27], 0 offen offset:1024// 000000003C18: E05C1400 80866C36
	v_mfma_f32_16x16x32_fp8_fp8 v[240:243], a[172:173], a[12:13], v[240:243]// 000000003C20: D3F300F0 1FC219AC
	v_mfma_f32_16x16x32_fp8_fp8 v[240:243], a[174:175], a[14:15], v[240:243]// 000000003C28: D3F300F0 1FC21DAE
	v_mfma_f32_16x16x32_fp8_fp8 v[160:163], a[112:113], a[16:17], v[160:163]// 000000003C30: D3F300A0 1E822170
	v_mfma_f32_16x16x32_fp8_fp8 v[160:163], a[114:115], a[18:19], v[160:163]// 000000003C38: D3F300A0 1E822572
	v_mfma_f32_16x16x32_fp8_fp8 v[160:163], a[116:117], a[20:21], v[160:163]// 000000003C40: D3F300A0 1E822974
	v_mfma_f32_16x16x32_fp8_fp8 v[160:163], a[118:119], a[22:23], v[160:163]// 000000003C48: D3F300A0 1E822D76
	v_mfma_f32_16x16x32_fp8_fp8 v[172:175], a[120:121], a[16:17], v[172:175]// 000000003C50: D3F300AC 1EB22178
	v_mfma_f32_16x16x32_fp8_fp8 v[172:175], a[122:123], a[18:19], v[172:175]// 000000003C58: D3F300AC 1EB2257A
	v_mfma_f32_16x16x32_fp8_fp8 v[172:175], a[124:125], a[20:21], v[172:175]// 000000003C60: D3F300AC 1EB2297C
	v_mfma_f32_16x16x32_fp8_fp8 v[172:175], a[126:127], a[22:23], v[172:175]// 000000003C68: D3F300AC 1EB22D7E
	v_mfma_f32_16x16x32_fp8_fp8 v[184:187], a[128:129], a[16:17], v[184:187]// 000000003C70: D3F300B8 1EE22180
	v_mfma_f32_16x16x32_fp8_fp8 v[184:187], a[130:131], a[18:19], v[184:187]// 000000003C78: D3F300B8 1EE22582
	v_mfma_f32_16x16x32_fp8_fp8 v[184:187], a[132:133], a[20:21], v[184:187]// 000000003C80: D3F300B8 1EE22984
	v_mfma_f32_16x16x32_fp8_fp8 v[184:187], a[134:135], a[22:23], v[184:187]// 000000003C88: D3F300B8 1EE22D86
	v_mfma_f32_16x16x32_fp8_fp8 v[196:199], a[136:137], a[16:17], v[196:199]// 000000003C90: D3F300C4 1F122188
	v_mfma_f32_16x16x32_fp8_fp8 v[196:199], a[138:139], a[18:19], v[196:199]// 000000003C98: D3F300C4 1F12258A
	v_mfma_f32_16x16x32_fp8_fp8 v[196:199], a[140:141], a[20:21], v[196:199]// 000000003CA0: D3F300C4 1F12298C
	v_mfma_f32_16x16x32_fp8_fp8 v[196:199], a[142:143], a[22:23], v[196:199]// 000000003CA8: D3F300C4 1F122D8E
	v_mfma_f32_16x16x32_fp8_fp8 v[208:211], a[144:145], a[16:17], v[208:211]// 000000003CB0: D3F300D0 1F422190
	v_mfma_f32_16x16x32_fp8_fp8 v[208:211], a[146:147], a[18:19], v[208:211]// 000000003CB8: D3F300D0 1F422592
	v_mfma_f32_16x16x32_fp8_fp8 v[208:211], a[148:149], a[20:21], v[208:211]// 000000003CC0: D3F300D0 1F422994
	v_mfma_f32_16x16x32_fp8_fp8 v[208:211], a[150:151], a[22:23], v[208:211]// 000000003CC8: D3F300D0 1F422D96
	v_mfma_f32_16x16x32_fp8_fp8 v[220:223], a[152:153], a[16:17], v[220:223]// 000000003CD0: D3F300DC 1F722198
	v_mfma_f32_16x16x32_fp8_fp8 v[220:223], a[154:155], a[18:19], v[220:223]// 000000003CD8: D3F300DC 1F72259A
	v_mfma_f32_16x16x32_fp8_fp8 v[220:223], a[156:157], a[20:21], v[220:223]// 000000003CE0: D3F300DC 1F72299C
	v_mfma_f32_16x16x32_fp8_fp8 v[220:223], a[158:159], a[22:23], v[220:223]// 000000003CE8: D3F300DC 1F722D9E
	v_mfma_f32_16x16x32_fp8_fp8 v[232:235], a[160:161], a[16:17], v[232:235]// 000000003CF0: D3F300E8 1FA221A0
	v_mfma_f32_16x16x32_fp8_fp8 v[232:235], a[162:163], a[18:19], v[232:235]// 000000003CF8: D3F300E8 1FA225A2
	v_mfma_f32_16x16x32_fp8_fp8 v[232:235], a[164:165], a[20:21], v[232:235]// 000000003D00: D3F300E8 1FA229A4
	s_add_u32 s60, 0x180, s80                                  // 000000003D08: 803C50FF 00000180
	s_cmp_lt_u32 s60, s81                                      // 000000003D10: BF0A513C
	s_cselect_b32 s57, s57, 0                                  // 000000003D14: 85398039
	v_mfma_f32_16x16x32_fp8_fp8 v[232:235], a[166:167], a[22:23], v[232:235]// 000000003D18: D3F300E8 1FA22DA6
	s_add_u32 s60, 0x100, s80                                  // 000000003D20: 803C50FF 00000100
	s_cmp_lt_u32 s60, s81                                      // 000000003D28: BF0A513C
	s_cselect_b32 s58, s58, 0                                  // 000000003D2C: 853A803A
	v_mfma_f32_16x16x32_fp8_fp8 v[244:247], a[168:169], a[16:17], v[244:247]// 000000003D30: D3F300F4 1FD221A8
	s_add_u32 s24, s58, s24                                    // 000000003D38: 8018183A
	s_addc_u32 s25, 0, s25                                     // 000000003D3C: 82191980
	v_mfma_f32_16x16x32_fp8_fp8 v[244:247], a[170:171], a[18:19], v[244:247]// 000000003D40: D3F300F4 1FD225AA
	s_add_u32 s20, s57, s20                                    // 000000003D48: 80141439
	s_addc_u32 s21, 0, s21                                     // 000000003D4C: 82151580
	v_mfma_f32_16x16x32_fp8_fp8 v[244:247], a[172:173], a[20:21], v[244:247]// 000000003D50: D3F300F4 1FD229AC
	s_add_u32 s84, s83, s84                                    // 000000003D58: 80545453
	s_addc_u32 s85, 0, s85                                     // 000000003D5C: 82555580
	v_mfma_f32_16x16x32_fp8_fp8 v[244:247], a[174:175], a[22:23], v[244:247]// 000000003D60: D3F300F4 1FD22DAE
	s_addk_i32 s80, 0x80                                       // 000000003D68: B7500080
	s_cmp_lt_i32 s80, s81                                      // 000000003D6C: BF045150
	s_cbranch_scc0 label_06E0                                  // 000000003D70: BF840203
	s_waitcnt vmcnt(14) lgkmcnt(0)                             // 000000003D74: BF8C007E
	s_barrier                                                  // 000000003D78: BF8A0000
	v_mfma_f32_16x16x32_fp8_fp8 v[56:59], a[48:49], a[24:25], v[56:59]// 000000003D7C: D3F30038 1CE23130
	v_mfma_f32_16x16x32_fp8_fp8 v[56:59], a[50:51], a[26:27], v[56:59]// 000000003D84: D3F30038 1CE23532
	buffer_load_dwordx4 a[112:115], v47, s[84:87], 0 offen     // 000000003D8C: E05C1000 8095702F
	v_mfma_f32_16x16x32_fp8_fp8 v[56:59], a[52:53], a[28:29], v[56:59]// 000000003D94: D3F30038 1CE23934
	v_mfma_f32_16x16x32_fp8_fp8 v[56:59], a[54:55], a[30:31], v[56:59]// 000000003D9C: D3F30038 1CE23D36
	v_mfma_f32_16x16x32_fp8_fp8 v[60:63], a[48:49], a[32:33], v[60:63]// 000000003DA4: D3F3003C 1CF24130
	v_mfma_f32_16x16x32_fp8_fp8 v[60:63], a[50:51], a[34:35], v[60:63]// 000000003DAC: D3F3003C 1CF24532
	buffer_load_dwordx4 a[116:119], v47, s[84:87], 0 offen offset:1024// 000000003DB4: E05C1400 8095742F
	v_mfma_f32_16x16x32_fp8_fp8 v[60:63], a[52:53], a[36:37], v[60:63]// 000000003DBC: D3F3003C 1CF24934
	v_mfma_f32_16x16x32_fp8_fp8 v[60:63], a[54:55], a[38:39], v[60:63]// 000000003DC4: D3F3003C 1CF24D36
	v_mfma_f32_16x16x32_fp8_fp8 v[64:67], a[48:49], a[40:41], v[64:67]// 000000003DCC: D3F30040 1D025130
	v_mfma_f32_16x16x32_fp8_fp8 v[64:67], a[50:51], a[42:43], v[64:67]// 000000003DD4: D3F30040 1D025532
	buffer_load_dwordx4 a[120:123], v48, s[84:87], 0 offen     // 000000003DDC: E05C1000 80957830
	v_mfma_f32_16x16x32_fp8_fp8 v[64:67], a[52:53], a[44:45], v[64:67]// 000000003DE4: D3F30040 1D025934
	v_mfma_f32_16x16x32_fp8_fp8 v[64:67], a[54:55], a[46:47], v[64:67]// 000000003DEC: D3F30040 1D025D36
	s_waitcnt vmcnt(15)                                        // 000000003DF4: BF8C0F7F
	v_mfma_f32_16x16x32_fp8_fp8 v[68:71], a[56:57], a[24:25], v[68:71]// 000000003DF8: D3F30044 1D123138
	v_mfma_f32_16x16x32_fp8_fp8 v[68:71], a[58:59], a[26:27], v[68:71]// 000000003E00: D3F30044 1D12353A
	buffer_load_dwordx4 a[124:127], v48, s[84:87], 0 offen offset:1024// 000000003E08: E05C1400 80957C30
	v_mfma_f32_16x16x32_fp8_fp8 v[68:71], a[60:61], a[28:29], v[68:71]// 000000003E10: D3F30044 1D12393C
	v_mfma_f32_16x16x32_fp8_fp8 v[68:71], a[62:63], a[30:31], v[68:71]// 000000003E18: D3F30044 1D123D3E
	v_mfma_f32_16x16x32_fp8_fp8 v[72:75], a[56:57], a[32:33], v[72:75]// 000000003E20: D3F30048 1D224138
	v_mfma_f32_16x16x32_fp8_fp8 v[72:75], a[58:59], a[34:35], v[72:75]// 000000003E28: D3F30048 1D22453A
	buffer_load_dwordx4 a[128:131], v49, s[84:87], 0 offen     // 000000003E30: E05C1000 80958031
	v_mfma_f32_16x16x32_fp8_fp8 v[72:75], a[60:61], a[36:37], v[72:75]// 000000003E38: D3F30048 1D22493C
	v_mfma_f32_16x16x32_fp8_fp8 v[72:75], a[62:63], a[38:39], v[72:75]// 000000003E40: D3F30048 1D224D3E
	v_mfma_f32_16x16x32_fp8_fp8 v[76:79], a[56:57], a[40:41], v[76:79]// 000000003E48: D3F3004C 1D325138
	v_mfma_f32_16x16x32_fp8_fp8 v[76:79], a[58:59], a[42:43], v[76:79]// 000000003E50: D3F3004C 1D32553A
	buffer_load_dwordx4 a[132:135], v49, s[84:87], 0 offen offset:1024// 000000003E58: E05C1400 80958431
	v_mfma_f32_16x16x32_fp8_fp8 v[76:79], a[60:61], a[44:45], v[76:79]// 000000003E60: D3F3004C 1D32593C
	v_mfma_f32_16x16x32_fp8_fp8 v[76:79], a[62:63], a[46:47], v[76:79]// 000000003E68: D3F3004C 1D325D3E
	s_waitcnt vmcnt(16)                                        // 000000003E70: BF8C4F70
	v_mfma_f32_16x16x32_fp8_fp8 v[80:83], a[64:65], a[24:25], v[80:83]// 000000003E74: D3F30050 1D423140
	v_mfma_f32_16x16x32_fp8_fp8 v[80:83], a[66:67], a[26:27], v[80:83]// 000000003E7C: D3F30050 1D423542
	buffer_load_dwordx4 a[136:139], v50, s[84:87], 0 offen     // 000000003E84: E05C1000 80958832
	v_mfma_f32_16x16x32_fp8_fp8 v[80:83], a[68:69], a[28:29], v[80:83]// 000000003E8C: D3F30050 1D423944
	v_mfma_f32_16x16x32_fp8_fp8 v[80:83], a[70:71], a[30:31], v[80:83]// 000000003E94: D3F30050 1D423D46
	v_mfma_f32_16x16x32_fp8_fp8 v[84:87], a[64:65], a[32:33], v[84:87]// 000000003E9C: D3F30054 1D524140
	v_mfma_f32_16x16x32_fp8_fp8 v[84:87], a[66:67], a[34:35], v[84:87]// 000000003EA4: D3F30054 1D524542
	buffer_load_dwordx4 a[140:143], v50, s[84:87], 0 offen offset:1024// 000000003EAC: E05C1400 80958C32
	v_mfma_f32_16x16x32_fp8_fp8 v[84:87], a[68:69], a[36:37], v[84:87]// 000000003EB4: D3F30054 1D524944
	v_mfma_f32_16x16x32_fp8_fp8 v[84:87], a[70:71], a[38:39], v[84:87]// 000000003EBC: D3F30054 1D524D46
	v_mfma_f32_16x16x32_fp8_fp8 v[88:91], a[64:65], a[40:41], v[88:91]// 000000003EC4: D3F30058 1D625140
	v_mfma_f32_16x16x32_fp8_fp8 v[88:91], a[66:67], a[42:43], v[88:91]// 000000003ECC: D3F30058 1D625542
	buffer_load_dwordx4 a[144:147], v51, s[84:87], 0 offen     // 000000003ED4: E05C1000 80959033
	v_mfma_f32_16x16x32_fp8_fp8 v[88:91], a[68:69], a[44:45], v[88:91]// 000000003EDC: D3F30058 1D625944
	v_mfma_f32_16x16x32_fp8_fp8 v[88:91], a[70:71], a[46:47], v[88:91]// 000000003EE4: D3F30058 1D625D46
	s_waitcnt vmcnt(17)                                        // 000000003EEC: BF8C4F71
	v_mfma_f32_16x16x32_fp8_fp8 v[92:95], a[72:73], a[24:25], v[92:95]// 000000003EF0: D3F3005C 1D723148
	v_mfma_f32_16x16x32_fp8_fp8 v[92:95], a[74:75], a[26:27], v[92:95]// 000000003EF8: D3F3005C 1D72354A
	buffer_load_dwordx4 a[148:151], v51, s[84:87], 0 offen offset:1024// 000000003F00: E05C1400 80959433
	v_mfma_f32_16x16x32_fp8_fp8 v[92:95], a[76:77], a[28:29], v[92:95]// 000000003F08: D3F3005C 1D72394C
	v_mfma_f32_16x16x32_fp8_fp8 v[92:95], a[78:79], a[30:31], v[92:95]// 000000003F10: D3F3005C 1D723D4E
	v_mfma_f32_16x16x32_fp8_fp8 v[96:99], a[72:73], a[32:33], v[96:99]// 000000003F18: D3F30060 1D824148
	v_mfma_f32_16x16x32_fp8_fp8 v[96:99], a[74:75], a[34:35], v[96:99]// 000000003F20: D3F30060 1D82454A
	buffer_load_dwordx4 a[152:155], v52, s[84:87], 0 offen     // 000000003F28: E05C1000 80959834
	v_mfma_f32_16x16x32_fp8_fp8 v[96:99], a[76:77], a[36:37], v[96:99]// 000000003F30: D3F30060 1D82494C
	v_mfma_f32_16x16x32_fp8_fp8 v[96:99], a[78:79], a[38:39], v[96:99]// 000000003F38: D3F30060 1D824D4E
	v_mfma_f32_16x16x32_fp8_fp8 v[100:103], a[72:73], a[40:41], v[100:103]// 000000003F40: D3F30064 1D925148
	v_mfma_f32_16x16x32_fp8_fp8 v[100:103], a[74:75], a[42:43], v[100:103]// 000000003F48: D3F30064 1D92554A
	buffer_load_dwordx4 a[156:159], v52, s[84:87], 0 offen offset:1024// 000000003F50: E05C1400 80959C34
	v_mfma_f32_16x16x32_fp8_fp8 v[100:103], a[76:77], a[44:45], v[100:103]// 000000003F58: D3F30064 1D92594C
	v_mfma_f32_16x16x32_fp8_fp8 v[100:103], a[78:79], a[46:47], v[100:103]// 000000003F60: D3F30064 1D925D4E
	s_waitcnt vmcnt(18)                                        // 000000003F68: BF8C4F72
	v_mfma_f32_16x16x32_fp8_fp8 v[104:107], a[80:81], a[24:25], v[104:107]// 000000003F6C: D3F30068 1DA23150
	v_mfma_f32_16x16x32_fp8_fp8 v[104:107], a[82:83], a[26:27], v[104:107]// 000000003F74: D3F30068 1DA23552
	buffer_load_dwordx4 a[160:163], v53, s[84:87], 0 offen     // 000000003F7C: E05C1000 8095A035
	v_mfma_f32_16x16x32_fp8_fp8 v[104:107], a[84:85], a[28:29], v[104:107]// 000000003F84: D3F30068 1DA23954
	v_mfma_f32_16x16x32_fp8_fp8 v[104:107], a[86:87], a[30:31], v[104:107]// 000000003F8C: D3F30068 1DA23D56
	v_mfma_f32_16x16x32_fp8_fp8 v[108:111], a[80:81], a[32:33], v[108:111]// 000000003F94: D3F3006C 1DB24150
	v_mfma_f32_16x16x32_fp8_fp8 v[108:111], a[82:83], a[34:35], v[108:111]// 000000003F9C: D3F3006C 1DB24552
	buffer_load_dwordx4 a[164:167], v53, s[84:87], 0 offen offset:1024// 000000003FA4: E05C1400 8095A435
	v_mfma_f32_16x16x32_fp8_fp8 v[108:111], a[84:85], a[36:37], v[108:111]// 000000003FAC: D3F3006C 1DB24954
	v_mfma_f32_16x16x32_fp8_fp8 v[108:111], a[86:87], a[38:39], v[108:111]// 000000003FB4: D3F3006C 1DB24D56
	v_mfma_f32_16x16x32_fp8_fp8 v[112:115], a[80:81], a[40:41], v[112:115]// 000000003FBC: D3F30070 1DC25150
	v_mfma_f32_16x16x32_fp8_fp8 v[112:115], a[82:83], a[42:43], v[112:115]// 000000003FC4: D3F30070 1DC25552
	buffer_load_dwordx4 a[168:171], v54, s[84:87], 0 offen     // 000000003FCC: E05C1000 8095A836
	v_mfma_f32_16x16x32_fp8_fp8 v[112:115], a[84:85], a[44:45], v[112:115]// 000000003FD4: D3F30070 1DC25954
	v_mfma_f32_16x16x32_fp8_fp8 v[112:115], a[86:87], a[46:47], v[112:115]// 000000003FDC: D3F30070 1DC25D56
	s_waitcnt vmcnt(19)                                        // 000000003FE4: BF8C4F73
	v_mfma_f32_16x16x32_fp8_fp8 v[116:119], a[88:89], a[24:25], v[116:119]// 000000003FE8: D3F30074 1DD23158
	v_mfma_f32_16x16x32_fp8_fp8 v[116:119], a[90:91], a[26:27], v[116:119]// 000000003FF0: D3F30074 1DD2355A
	buffer_load_dwordx4 a[172:175], v54, s[84:87], 0 offen offset:1024// 000000003FF8: E05C1400 8095AC36
	buffer_load_dword v41, s[20:23], 0 offen lds               // 000000004000: E0511000 80050029
	s_add_u32 m0, 0x100, s49                                   // 000000004008: 807C31FF 00000100
	v_mfma_f32_16x16x32_fp8_fp8 v[116:119], a[92:93], a[28:29], v[116:119]// 000000004010: D3F30074 1DD2395C
	v_mfma_f32_16x16x32_fp8_fp8 v[116:119], a[94:95], a[30:31], v[116:119]// 000000004018: D3F30074 1DD23D5E
	buffer_load_dword v42, s[20:23], 0 offen lds               // 000000004020: E0511000 8005002A
	s_add_u32 m0, 0x200, s49                                   // 000000004028: 807C31FF 00000200
	v_mfma_f32_16x16x32_fp8_fp8 v[120:123], a[88:89], a[32:33], v[120:123]// 000000004030: D3F30078 1DE24158
	v_mfma_f32_16x16x32_fp8_fp8 v[120:123], a[90:91], a[34:35], v[120:123]// 000000004038: D3F30078 1DE2455A
	buffer_load_dword v43, s[20:23], 0 offen lds               // 000000004040: E0511000 8005002B
	s_add_u32 m0, 0x300, s49                                   // 000000004048: 807C31FF 00000300
	v_mfma_f32_16x16x32_fp8_fp8 v[120:123], a[92:93], a[36:37], v[120:123]// 000000004050: D3F30078 1DE2495C
	v_mfma_f32_16x16x32_fp8_fp8 v[120:123], a[94:95], a[38:39], v[120:123]// 000000004058: D3F30078 1DE24D5E
	buffer_load_dword v44, s[20:23], 0 offen lds               // 000000004060: E0511000 8005002C
	s_add_u32 m0, 0x400, s49                                   // 000000004068: 807C31FF 00000400
	v_mfma_f32_16x16x32_fp8_fp8 v[124:127], a[88:89], a[40:41], v[124:127]// 000000004070: D3F3007C 1DF25158
	v_mfma_f32_16x16x32_fp8_fp8 v[124:127], a[90:91], a[42:43], v[124:127]// 000000004078: D3F3007C 1DF2555A
	buffer_load_dword v45, s[20:23], 0 offen lds               // 000000004080: E0511000 8005002D
	s_add_u32 m0, 0x500, s49                                   // 000000004088: 807C31FF 00000500
	v_mfma_f32_16x16x32_fp8_fp8 v[124:127], a[92:93], a[44:45], v[124:127]// 000000004090: D3F3007C 1DF2595C
	v_mfma_f32_16x16x32_fp8_fp8 v[124:127], a[94:95], a[46:47], v[124:127]// 000000004098: D3F3007C 1DF25D5E
	buffer_load_dword v46, s[20:23], 0 offen lds               // 0000000040A0: E0511000 8005002E
	s_add_u32 m0, 0, s48                                       // 0000000040A8: 807C3080
	s_waitcnt vmcnt(24)                                        // 0000000040AC: BF8C4F78
	v_mfma_f32_16x16x32_fp8_fp8 v[128:131], a[96:97], a[24:25], v[128:131]// 0000000040B0: D3F30080 1E023160
	v_mfma_f32_16x16x32_fp8_fp8 v[128:131], a[98:99], a[26:27], v[128:131]// 0000000040B8: D3F30080 1E023562
	v_mfma_f32_16x16x32_fp8_fp8 v[128:131], a[100:101], a[28:29], v[128:131]// 0000000040C0: D3F30080 1E023964
	v_mfma_f32_16x16x32_fp8_fp8 v[128:131], a[102:103], a[30:31], v[128:131]// 0000000040C8: D3F30080 1E023D66
	v_mfma_f32_16x16x32_fp8_fp8 v[132:135], a[96:97], a[32:33], v[132:135]// 0000000040D0: D3F30084 1E124160
	v_mfma_f32_16x16x32_fp8_fp8 v[132:135], a[98:99], a[34:35], v[132:135]// 0000000040D8: D3F30084 1E124562
	v_mfma_f32_16x16x32_fp8_fp8 v[132:135], a[100:101], a[36:37], v[132:135]// 0000000040E0: D3F30084 1E124964
	v_mfma_f32_16x16x32_fp8_fp8 v[132:135], a[102:103], a[38:39], v[132:135]// 0000000040E8: D3F30084 1E124D66
	v_mfma_f32_16x16x32_fp8_fp8 v[136:139], a[96:97], a[40:41], v[136:139]// 0000000040F0: D3F30088 1E225160
	v_mfma_f32_16x16x32_fp8_fp8 v[136:139], a[98:99], a[42:43], v[136:139]// 0000000040F8: D3F30088 1E225562
	v_mfma_f32_16x16x32_fp8_fp8 v[136:139], a[100:101], a[44:45], v[136:139]// 000000004100: D3F30088 1E225964
	v_mfma_f32_16x16x32_fp8_fp8 v[136:139], a[102:103], a[46:47], v[136:139]// 000000004108: D3F30088 1E225D66
	s_waitcnt vmcnt(22)                                        // 000000004110: BF8C4F76
	v_mfma_f32_16x16x32_fp8_fp8 v[140:143], a[104:105], a[24:25], v[140:143]// 000000004114: D3F3008C 1E323168
	v_mfma_f32_16x16x32_fp8_fp8 v[140:143], a[106:107], a[26:27], v[140:143]// 00000000411C: D3F3008C 1E32356A
	v_mfma_f32_16x16x32_fp8_fp8 v[140:143], a[108:109], a[28:29], v[140:143]// 000000004124: D3F3008C 1E32396C
	v_mfma_f32_16x16x32_fp8_fp8 v[140:143], a[110:111], a[30:31], v[140:143]// 00000000412C: D3F3008C 1E323D6E
	v_mfma_f32_16x16x32_fp8_fp8 v[144:147], a[104:105], a[32:33], v[144:147]// 000000004134: D3F30090 1E424168
	v_mfma_f32_16x16x32_fp8_fp8 v[144:147], a[106:107], a[34:35], v[144:147]// 00000000413C: D3F30090 1E42456A
	v_mfma_f32_16x16x32_fp8_fp8 v[144:147], a[108:109], a[36:37], v[144:147]// 000000004144: D3F30090 1E42496C
	v_mfma_f32_16x16x32_fp8_fp8 v[144:147], a[110:111], a[38:39], v[144:147]// 00000000414C: D3F30090 1E424D6E
	v_mfma_f32_16x16x32_fp8_fp8 v[148:151], a[104:105], a[40:41], v[148:151]// 000000004154: D3F30094 1E525168
	v_mfma_f32_16x16x32_fp8_fp8 v[148:151], a[106:107], a[42:43], v[148:151]// 00000000415C: D3F30094 1E52556A
	s_add_u32 s60, 0x80, s80                                   // 000000004164: 803C50FF 00000080
	s_cmp_lt_u32 s60, s81                                      // 00000000416C: BF0A513C
	s_cselect_b32 s83, s83, 0                                  // 000000004170: 85538053
	v_mfma_f32_16x16x32_fp8_fp8 v[148:151], a[108:109], a[44:45], v[148:151]// 000000004174: D3F30094 1E52596C
	v_mfma_f32_16x16x32_fp8_fp8 v[148:151], a[110:111], a[46:47], v[148:151]// 00000000417C: D3F30094 1E525D6E
	s_waitcnt vmcnt(6)                                         // 000000004184: BF8C0F76
	v_mfma_f32_16x16x32_fp8_fp8 v[152:155], a[112:113], a[24:25], v[152:155]// 000000004188: D3F30098 1E623170
	v_mfma_f32_16x16x32_fp8_fp8 v[152:155], a[114:115], a[26:27], v[152:155]// 000000004190: D3F30098 1E623572
	buffer_load_dwordx4 a[48:51], v47, s[24:27], 0 offen       // 000000004198: E05C1000 8086302F
	v_mfma_f32_16x16x32_fp8_fp8 v[152:155], a[116:117], a[28:29], v[152:155]// 0000000041A0: D3F30098 1E623974
	v_mfma_f32_16x16x32_fp8_fp8 v[152:155], a[118:119], a[30:31], v[152:155]// 0000000041A8: D3F30098 1E623D76
	ds_read_b128 a[0:3], v2                                    // 0000000041B0: DBFE0000 00000002
	ds_read_b128 a[4:7], v2 offset:64                          // 0000000041B8: DBFE0040 04000002
	v_mfma_f32_16x16x32_fp8_fp8 v[164:167], a[120:121], a[24:25], v[164:167]// 0000000041C0: D3F300A4 1E923178
	v_mfma_f32_16x16x32_fp8_fp8 v[164:167], a[122:123], a[26:27], v[164:167]// 0000000041C8: D3F300A4 1E92357A
	buffer_load_dwordx4 a[52:55], v47, s[24:27], 0 offen offset:1024// 0000000041D0: E05C1400 8086342F
	v_mfma_f32_16x16x32_fp8_fp8 v[164:167], a[124:125], a[28:29], v[164:167]// 0000000041D8: D3F300A4 1E92397C
	v_mfma_f32_16x16x32_fp8_fp8 v[164:167], a[126:127], a[30:31], v[164:167]// 0000000041E0: D3F300A4 1E923D7E
	ds_read_b128 a[8:11], v2 offset:512                        // 0000000041E8: DBFE0200 08000002
	ds_read_b128 a[12:15], v2 offset:576                       // 0000000041F0: DBFE0240 0C000002
	v_mfma_f32_16x16x32_fp8_fp8 v[176:179], a[128:129], a[24:25], v[176:179]// 0000000041F8: D3F300B0 1EC23180
	v_mfma_f32_16x16x32_fp8_fp8 v[176:179], a[130:131], a[26:27], v[176:179]// 000000004200: D3F300B0 1EC23582
	buffer_load_dwordx4 a[56:59], v48, s[24:27], 0 offen       // 000000004208: E05C1000 80863830
	v_mfma_f32_16x16x32_fp8_fp8 v[176:179], a[132:133], a[28:29], v[176:179]// 000000004210: D3F300B0 1EC23984
	v_mfma_f32_16x16x32_fp8_fp8 v[176:179], a[134:135], a[30:31], v[176:179]// 000000004218: D3F300B0 1EC23D86
	ds_read_b128 a[16:19], v2 offset:1024                      // 000000004220: DBFE0400 10000002
	ds_read_b128 a[20:23], v2 offset:1088                      // 000000004228: DBFE0440 14000002
	v_mfma_f32_16x16x32_fp8_fp8 v[188:191], a[136:137], a[24:25], v[188:191]// 000000004230: D3F300BC 1EF23188
	v_mfma_f32_16x16x32_fp8_fp8 v[188:191], a[138:139], a[26:27], v[188:191]// 000000004238: D3F300BC 1EF2358A
	buffer_load_dwordx4 a[60:63], v48, s[24:27], 0 offen offset:1024// 000000004240: E05C1400 80863C30
	v_mfma_f32_16x16x32_fp8_fp8 v[188:191], a[140:141], a[28:29], v[188:191]// 000000004248: D3F300BC 1EF2398C
	v_mfma_f32_16x16x32_fp8_fp8 v[188:191], a[142:143], a[30:31], v[188:191]// 000000004250: D3F300BC 1EF23D8E
	v_mfma_f32_16x16x32_fp8_fp8 v[200:203], a[144:145], a[24:25], v[200:203]// 000000004258: D3F300C8 1F223190
	v_mfma_f32_16x16x32_fp8_fp8 v[200:203], a[146:147], a[26:27], v[200:203]// 000000004260: D3F300C8 1F223592
	buffer_load_dwordx4 a[64:67], v49, s[24:27], 0 offen       // 000000004268: E05C1000 80864031
	v_mfma_f32_16x16x32_fp8_fp8 v[200:203], a[148:149], a[28:29], v[200:203]// 000000004270: D3F300C8 1F223994
	v_mfma_f32_16x16x32_fp8_fp8 v[200:203], a[150:151], a[30:31], v[200:203]// 000000004278: D3F300C8 1F223D96
	v_mfma_f32_16x16x32_fp8_fp8 v[212:215], a[152:153], a[24:25], v[212:215]// 000000004280: D3F300D4 1F523198
	v_mfma_f32_16x16x32_fp8_fp8 v[212:215], a[154:155], a[26:27], v[212:215]// 000000004288: D3F300D4 1F52359A
	buffer_load_dwordx4 a[68:71], v49, s[24:27], 0 offen offset:1024// 000000004290: E05C1400 80864431
	v_mfma_f32_16x16x32_fp8_fp8 v[212:215], a[156:157], a[28:29], v[212:215]// 000000004298: D3F300D4 1F52399C
	v_mfma_f32_16x16x32_fp8_fp8 v[212:215], a[158:159], a[30:31], v[212:215]// 0000000042A0: D3F300D4 1F523D9E
	v_mfma_f32_16x16x32_fp8_fp8 v[224:227], a[160:161], a[24:25], v[224:227]// 0000000042A8: D3F300E0 1F8231A0
	v_mfma_f32_16x16x32_fp8_fp8 v[224:227], a[162:163], a[26:27], v[224:227]// 0000000042B0: D3F300E0 1F8235A2
	buffer_load_dwordx4 a[72:75], v50, s[24:27], 0 offen       // 0000000042B8: E05C1000 80864832
	v_mfma_f32_16x16x32_fp8_fp8 v[224:227], a[164:165], a[28:29], v[224:227]// 0000000042C0: D3F300E0 1F8239A4
	v_mfma_f32_16x16x32_fp8_fp8 v[224:227], a[166:167], a[30:31], v[224:227]// 0000000042C8: D3F300E0 1F823DA6
	v_mfma_f32_16x16x32_fp8_fp8 v[236:239], a[168:169], a[24:25], v[236:239]// 0000000042D0: D3F300EC 1FB231A8
	v_mfma_f32_16x16x32_fp8_fp8 v[236:239], a[170:171], a[26:27], v[236:239]// 0000000042D8: D3F300EC 1FB235AA
	buffer_load_dwordx4 a[76:79], v50, s[24:27], 0 offen offset:1024// 0000000042E0: E05C1400 80864C32
	v_mfma_f32_16x16x32_fp8_fp8 v[236:239], a[172:173], a[28:29], v[236:239]// 0000000042E8: D3F300EC 1FB239AC
	v_mfma_f32_16x16x32_fp8_fp8 v[236:239], a[174:175], a[30:31], v[236:239]// 0000000042F0: D3F300EC 1FB23DAE
	v_mfma_f32_16x16x32_fp8_fp8 v[156:159], a[112:113], a[32:33], v[156:159]// 0000000042F8: D3F3009C 1E724170
	v_mfma_f32_16x16x32_fp8_fp8 v[156:159], a[114:115], a[34:35], v[156:159]// 000000004300: D3F3009C 1E724572
	buffer_load_dwordx4 a[80:83], v51, s[24:27], 0 offen       // 000000004308: E05C1000 80865033
	v_mfma_f32_16x16x32_fp8_fp8 v[156:159], a[116:117], a[36:37], v[156:159]// 000000004310: D3F3009C 1E724974
	v_mfma_f32_16x16x32_fp8_fp8 v[156:159], a[118:119], a[38:39], v[156:159]// 000000004318: D3F3009C 1E724D76
	v_mfma_f32_16x16x32_fp8_fp8 v[168:171], a[120:121], a[32:33], v[168:171]// 000000004320: D3F300A8 1EA24178
	v_mfma_f32_16x16x32_fp8_fp8 v[168:171], a[122:123], a[34:35], v[168:171]// 000000004328: D3F300A8 1EA2457A
	buffer_load_dwordx4 a[84:87], v51, s[24:27], 0 offen offset:1024// 000000004330: E05C1400 80865433
	v_mfma_f32_16x16x32_fp8_fp8 v[168:171], a[124:125], a[36:37], v[168:171]// 000000004338: D3F300A8 1EA2497C
	v_mfma_f32_16x16x32_fp8_fp8 v[168:171], a[126:127], a[38:39], v[168:171]// 000000004340: D3F300A8 1EA24D7E
	v_mfma_f32_16x16x32_fp8_fp8 v[180:183], a[128:129], a[32:33], v[180:183]// 000000004348: D3F300B4 1ED24180
	v_mfma_f32_16x16x32_fp8_fp8 v[180:183], a[130:131], a[34:35], v[180:183]// 000000004350: D3F300B4 1ED24582
	buffer_load_dwordx4 a[88:91], v52, s[24:27], 0 offen       // 000000004358: E05C1000 80865834
	v_mfma_f32_16x16x32_fp8_fp8 v[180:183], a[132:133], a[36:37], v[180:183]// 000000004360: D3F300B4 1ED24984
	v_mfma_f32_16x16x32_fp8_fp8 v[180:183], a[134:135], a[38:39], v[180:183]// 000000004368: D3F300B4 1ED24D86
	v_mfma_f32_16x16x32_fp8_fp8 v[192:195], a[136:137], a[32:33], v[192:195]// 000000004370: D3F300C0 1F024188
	v_mfma_f32_16x16x32_fp8_fp8 v[192:195], a[138:139], a[34:35], v[192:195]// 000000004378: D3F300C0 1F02458A
	buffer_load_dwordx4 a[92:95], v52, s[24:27], 0 offen offset:1024// 000000004380: E05C1400 80865C34
	v_mfma_f32_16x16x32_fp8_fp8 v[192:195], a[140:141], a[36:37], v[192:195]// 000000004388: D3F300C0 1F02498C
	v_mfma_f32_16x16x32_fp8_fp8 v[192:195], a[142:143], a[38:39], v[192:195]// 000000004390: D3F300C0 1F024D8E
	v_mfma_f32_16x16x32_fp8_fp8 v[204:207], a[144:145], a[32:33], v[204:207]// 000000004398: D3F300CC 1F324190
	v_mfma_f32_16x16x32_fp8_fp8 v[204:207], a[146:147], a[34:35], v[204:207]// 0000000043A0: D3F300CC 1F324592
	buffer_load_dwordx4 a[96:99], v53, s[24:27], 0 offen       // 0000000043A8: E05C1000 80866035
	v_mfma_f32_16x16x32_fp8_fp8 v[204:207], a[148:149], a[36:37], v[204:207]// 0000000043B0: D3F300CC 1F324994
	v_mfma_f32_16x16x32_fp8_fp8 v[204:207], a[150:151], a[38:39], v[204:207]// 0000000043B8: D3F300CC 1F324D96
	v_mfma_f32_16x16x32_fp8_fp8 v[216:219], a[152:153], a[32:33], v[216:219]// 0000000043C0: D3F300D8 1F624198
	v_mfma_f32_16x16x32_fp8_fp8 v[216:219], a[154:155], a[34:35], v[216:219]// 0000000043C8: D3F300D8 1F62459A
	buffer_load_dwordx4 a[100:103], v53, s[24:27], 0 offen offset:1024// 0000000043D0: E05C1400 80866435
	v_mfma_f32_16x16x32_fp8_fp8 v[216:219], a[156:157], a[36:37], v[216:219]// 0000000043D8: D3F300D8 1F62499C
	v_mfma_f32_16x16x32_fp8_fp8 v[216:219], a[158:159], a[38:39], v[216:219]// 0000000043E0: D3F300D8 1F624D9E
	v_mfma_f32_16x16x32_fp8_fp8 v[228:231], a[160:161], a[32:33], v[228:231]// 0000000043E8: D3F300E4 1F9241A0
	v_mfma_f32_16x16x32_fp8_fp8 v[228:231], a[162:163], a[34:35], v[228:231]// 0000000043F0: D3F300E4 1F9245A2
	buffer_load_dwordx4 a[104:107], v54, s[24:27], 0 offen     // 0000000043F8: E05C1000 80866836
	v_mfma_f32_16x16x32_fp8_fp8 v[228:231], a[164:165], a[36:37], v[228:231]// 000000004400: D3F300E4 1F9249A4
	v_mfma_f32_16x16x32_fp8_fp8 v[228:231], a[166:167], a[38:39], v[228:231]// 000000004408: D3F300E4 1F924DA6
	v_mfma_f32_16x16x32_fp8_fp8 v[240:243], a[168:169], a[32:33], v[240:243]// 000000004410: D3F300F0 1FC241A8
	v_mfma_f32_16x16x32_fp8_fp8 v[240:243], a[170:171], a[34:35], v[240:243]// 000000004418: D3F300F0 1FC245AA
	buffer_load_dwordx4 a[108:111], v54, s[24:27], 0 offen offset:1024// 000000004420: E05C1400 80866C36
	v_mfma_f32_16x16x32_fp8_fp8 v[240:243], a[172:173], a[36:37], v[240:243]// 000000004428: D3F300F0 1FC249AC
	v_mfma_f32_16x16x32_fp8_fp8 v[240:243], a[174:175], a[38:39], v[240:243]// 000000004430: D3F300F0 1FC24DAE
	v_mfma_f32_16x16x32_fp8_fp8 v[160:163], a[112:113], a[40:41], v[160:163]// 000000004438: D3F300A0 1E825170
	v_mfma_f32_16x16x32_fp8_fp8 v[160:163], a[114:115], a[42:43], v[160:163]// 000000004440: D3F300A0 1E825572
	v_mfma_f32_16x16x32_fp8_fp8 v[160:163], a[116:117], a[44:45], v[160:163]// 000000004448: D3F300A0 1E825974
	v_mfma_f32_16x16x32_fp8_fp8 v[160:163], a[118:119], a[46:47], v[160:163]// 000000004450: D3F300A0 1E825D76
	v_mfma_f32_16x16x32_fp8_fp8 v[172:175], a[120:121], a[40:41], v[172:175]// 000000004458: D3F300AC 1EB25178
	v_mfma_f32_16x16x32_fp8_fp8 v[172:175], a[122:123], a[42:43], v[172:175]// 000000004460: D3F300AC 1EB2557A
	v_mfma_f32_16x16x32_fp8_fp8 v[172:175], a[124:125], a[44:45], v[172:175]// 000000004468: D3F300AC 1EB2597C
	v_mfma_f32_16x16x32_fp8_fp8 v[172:175], a[126:127], a[46:47], v[172:175]// 000000004470: D3F300AC 1EB25D7E
	v_mfma_f32_16x16x32_fp8_fp8 v[184:187], a[128:129], a[40:41], v[184:187]// 000000004478: D3F300B8 1EE25180
	v_mfma_f32_16x16x32_fp8_fp8 v[184:187], a[130:131], a[42:43], v[184:187]// 000000004480: D3F300B8 1EE25582
	v_mfma_f32_16x16x32_fp8_fp8 v[184:187], a[132:133], a[44:45], v[184:187]// 000000004488: D3F300B8 1EE25984
	v_mfma_f32_16x16x32_fp8_fp8 v[184:187], a[134:135], a[46:47], v[184:187]// 000000004490: D3F300B8 1EE25D86
	v_mfma_f32_16x16x32_fp8_fp8 v[196:199], a[136:137], a[40:41], v[196:199]// 000000004498: D3F300C4 1F125188
	v_mfma_f32_16x16x32_fp8_fp8 v[196:199], a[138:139], a[42:43], v[196:199]// 0000000044A0: D3F300C4 1F12558A
	v_mfma_f32_16x16x32_fp8_fp8 v[196:199], a[140:141], a[44:45], v[196:199]// 0000000044A8: D3F300C4 1F12598C
	v_mfma_f32_16x16x32_fp8_fp8 v[196:199], a[142:143], a[46:47], v[196:199]// 0000000044B0: D3F300C4 1F125D8E
	v_mfma_f32_16x16x32_fp8_fp8 v[208:211], a[144:145], a[40:41], v[208:211]// 0000000044B8: D3F300D0 1F425190
	v_mfma_f32_16x16x32_fp8_fp8 v[208:211], a[146:147], a[42:43], v[208:211]// 0000000044C0: D3F300D0 1F425592
	v_mfma_f32_16x16x32_fp8_fp8 v[208:211], a[148:149], a[44:45], v[208:211]// 0000000044C8: D3F300D0 1F425994
	v_mfma_f32_16x16x32_fp8_fp8 v[208:211], a[150:151], a[46:47], v[208:211]// 0000000044D0: D3F300D0 1F425D96
	v_mfma_f32_16x16x32_fp8_fp8 v[220:223], a[152:153], a[40:41], v[220:223]// 0000000044D8: D3F300DC 1F725198
	v_mfma_f32_16x16x32_fp8_fp8 v[220:223], a[154:155], a[42:43], v[220:223]// 0000000044E0: D3F300DC 1F72559A
	v_mfma_f32_16x16x32_fp8_fp8 v[220:223], a[156:157], a[44:45], v[220:223]// 0000000044E8: D3F300DC 1F72599C
	v_mfma_f32_16x16x32_fp8_fp8 v[220:223], a[158:159], a[46:47], v[220:223]// 0000000044F0: D3F300DC 1F725D9E
	v_mfma_f32_16x16x32_fp8_fp8 v[232:235], a[160:161], a[40:41], v[232:235]// 0000000044F8: D3F300E8 1FA251A0
	v_mfma_f32_16x16x32_fp8_fp8 v[232:235], a[162:163], a[42:43], v[232:235]// 000000004500: D3F300E8 1FA255A2
	v_mfma_f32_16x16x32_fp8_fp8 v[232:235], a[164:165], a[44:45], v[232:235]// 000000004508: D3F300E8 1FA259A4
	s_add_u32 s60, 0x180, s80                                  // 000000004510: 803C50FF 00000180
	s_cmp_lt_u32 s60, s81                                      // 000000004518: BF0A513C
	s_cselect_b32 s57, s57, 0                                  // 00000000451C: 85398039
	v_mfma_f32_16x16x32_fp8_fp8 v[232:235], a[166:167], a[46:47], v[232:235]// 000000004520: D3F300E8 1FA25DA6
	s_add_u32 s60, 0x100, s80                                  // 000000004528: 803C50FF 00000100
	s_cmp_lt_u32 s60, s81                                      // 000000004530: BF0A513C
	s_cselect_b32 s58, s58, 0                                  // 000000004534: 853A803A
	v_mfma_f32_16x16x32_fp8_fp8 v[244:247], a[168:169], a[40:41], v[244:247]// 000000004538: D3F300F4 1FD251A8
	s_add_u32 s24, s58, s24                                    // 000000004540: 8018183A
	s_addc_u32 s25, 0, s25                                     // 000000004544: 82191980
	v_mfma_f32_16x16x32_fp8_fp8 v[244:247], a[170:171], a[42:43], v[244:247]// 000000004548: D3F300F4 1FD255AA
	s_add_u32 s20, s57, s20                                    // 000000004550: 80141439
	s_addc_u32 s21, 0, s21                                     // 000000004554: 82151580
	v_mfma_f32_16x16x32_fp8_fp8 v[244:247], a[172:173], a[44:45], v[244:247]// 000000004558: D3F300F4 1FD259AC
	s_add_u32 s84, s83, s84                                    // 000000004560: 80545453
	s_addc_u32 s85, 0, s85                                     // 000000004564: 82555580
	v_mfma_f32_16x16x32_fp8_fp8 v[244:247], a[174:175], a[46:47], v[244:247]// 000000004568: D3F300F4 1FD25DAE
	s_addk_i32 s80, 0x80                                       // 000000004570: B7500080
	s_cmp_lt_i32 s80, s81                                      // 000000004574: BF045150
	s_cbranch_scc0 label_06E0                                  // 000000004578: BF840001
	s_branch label_02DB                                        // 00000000457C: BF82FBFB

0000000000004580 <label_06E0>:
	v_mul_f32_dpp v56, v25, v56 row_newbcast:0 row_mask:0xf bank_mask:0xf// 000000004580: 0A7070FA FF015019
	v_mul_f32_dpp v57, v25, v57 row_newbcast:1 row_mask:0xf bank_mask:0xf// 000000004588: 0A7272FA FF015119
	v_mul_f32_dpp v58, v25, v58 row_newbcast:2 row_mask:0xf bank_mask:0xf// 000000004590: 0A7474FA FF015219
	v_mul_f32_dpp v59, v25, v59 row_newbcast:3 row_mask:0xf bank_mask:0xf// 000000004598: 0A7676FA FF015319
	v_mul_f32_dpp v60, v25, v60 row_newbcast:0 row_mask:0xf bank_mask:0xf// 0000000045A0: 0A7878FA FF015019
	v_mul_f32_dpp v61, v25, v61 row_newbcast:1 row_mask:0xf bank_mask:0xf// 0000000045A8: 0A7A7AFA FF015119
	v_mul_f32_dpp v62, v25, v62 row_newbcast:2 row_mask:0xf bank_mask:0xf// 0000000045B0: 0A7C7CFA FF015219
	v_mul_f32_dpp v63, v25, v63 row_newbcast:3 row_mask:0xf bank_mask:0xf// 0000000045B8: 0A7E7EFA FF015319
	v_mul_f32_dpp v64, v25, v64 row_newbcast:0 row_mask:0xf bank_mask:0xf// 0000000045C0: 0A8080FA FF015019
	v_mul_f32_dpp v65, v25, v65 row_newbcast:1 row_mask:0xf bank_mask:0xf// 0000000045C8: 0A8282FA FF015119
	v_mul_f32_dpp v66, v25, v66 row_newbcast:2 row_mask:0xf bank_mask:0xf// 0000000045D0: 0A8484FA FF015219
	v_mul_f32_dpp v67, v25, v67 row_newbcast:3 row_mask:0xf bank_mask:0xf// 0000000045D8: 0A8686FA FF015319
	v_mul_f32_dpp v68, v25, v68 row_newbcast:4 row_mask:0xf bank_mask:0xf// 0000000045E0: 0A8888FA FF015419
	v_mul_f32_dpp v69, v25, v69 row_newbcast:5 row_mask:0xf bank_mask:0xf// 0000000045E8: 0A8A8AFA FF015519
	v_mul_f32_dpp v70, v25, v70 row_newbcast:6 row_mask:0xf bank_mask:0xf// 0000000045F0: 0A8C8CFA FF015619
	v_mul_f32_dpp v71, v25, v71 row_newbcast:7 row_mask:0xf bank_mask:0xf// 0000000045F8: 0A8E8EFA FF015719
	v_mul_f32_dpp v72, v25, v72 row_newbcast:4 row_mask:0xf bank_mask:0xf// 000000004600: 0A9090FA FF015419
	v_mul_f32_dpp v73, v25, v73 row_newbcast:5 row_mask:0xf bank_mask:0xf// 000000004608: 0A9292FA FF015519
	v_mul_f32_dpp v74, v25, v74 row_newbcast:6 row_mask:0xf bank_mask:0xf// 000000004610: 0A9494FA FF015619
	v_mul_f32_dpp v75, v25, v75 row_newbcast:7 row_mask:0xf bank_mask:0xf// 000000004618: 0A9696FA FF015719
	v_mul_f32_dpp v76, v25, v76 row_newbcast:4 row_mask:0xf bank_mask:0xf// 000000004620: 0A9898FA FF015419
	v_mul_f32_dpp v77, v25, v77 row_newbcast:5 row_mask:0xf bank_mask:0xf// 000000004628: 0A9A9AFA FF015519
	v_mul_f32_dpp v78, v25, v78 row_newbcast:6 row_mask:0xf bank_mask:0xf// 000000004630: 0A9C9CFA FF015619
	v_mul_f32_dpp v79, v25, v79 row_newbcast:7 row_mask:0xf bank_mask:0xf// 000000004638: 0A9E9EFA FF015719
	v_mul_f32_dpp v80, v25, v80 row_newbcast:8 row_mask:0xf bank_mask:0xf// 000000004640: 0AA0A0FA FF015819
	v_mul_f32_dpp v81, v25, v81 row_newbcast:9 row_mask:0xf bank_mask:0xf// 000000004648: 0AA2A2FA FF015919
	v_mul_f32_dpp v82, v25, v82 row_newbcast:10 row_mask:0xf bank_mask:0xf// 000000004650: 0AA4A4FA FF015A19
	v_mul_f32_dpp v83, v25, v83 row_newbcast:11 row_mask:0xf bank_mask:0xf// 000000004658: 0AA6A6FA FF015B19
	v_mul_f32_dpp v84, v25, v84 row_newbcast:8 row_mask:0xf bank_mask:0xf// 000000004660: 0AA8A8FA FF015819
	v_mul_f32_dpp v85, v25, v85 row_newbcast:9 row_mask:0xf bank_mask:0xf// 000000004668: 0AAAAAFA FF015919
	v_mul_f32_dpp v86, v25, v86 row_newbcast:10 row_mask:0xf bank_mask:0xf// 000000004670: 0AACACFA FF015A19
	v_mul_f32_dpp v87, v25, v87 row_newbcast:11 row_mask:0xf bank_mask:0xf// 000000004678: 0AAEAEFA FF015B19
	v_mul_f32_dpp v88, v25, v88 row_newbcast:8 row_mask:0xf bank_mask:0xf// 000000004680: 0AB0B0FA FF015819
	v_mul_f32_dpp v89, v25, v89 row_newbcast:9 row_mask:0xf bank_mask:0xf// 000000004688: 0AB2B2FA FF015919
	v_mul_f32_dpp v90, v25, v90 row_newbcast:10 row_mask:0xf bank_mask:0xf// 000000004690: 0AB4B4FA FF015A19
	v_mul_f32_dpp v91, v25, v91 row_newbcast:11 row_mask:0xf bank_mask:0xf// 000000004698: 0AB6B6FA FF015B19
	v_mul_f32_dpp v92, v25, v92 row_newbcast:12 row_mask:0xf bank_mask:0xf// 0000000046A0: 0AB8B8FA FF015C19
	v_mul_f32_dpp v93, v25, v93 row_newbcast:13 row_mask:0xf bank_mask:0xf// 0000000046A8: 0ABABAFA FF015D19
	v_mul_f32_dpp v94, v25, v94 row_newbcast:14 row_mask:0xf bank_mask:0xf// 0000000046B0: 0ABCBCFA FF015E19
	v_mul_f32_dpp v95, v25, v95 row_newbcast:15 row_mask:0xf bank_mask:0xf// 0000000046B8: 0ABEBEFA FF015F19
	v_mul_f32_dpp v96, v25, v96 row_newbcast:12 row_mask:0xf bank_mask:0xf// 0000000046C0: 0AC0C0FA FF015C19
	v_mul_f32_dpp v97, v25, v97 row_newbcast:13 row_mask:0xf bank_mask:0xf// 0000000046C8: 0AC2C2FA FF015D19
	v_mul_f32_dpp v98, v25, v98 row_newbcast:14 row_mask:0xf bank_mask:0xf// 0000000046D0: 0AC4C4FA FF015E19
	v_mul_f32_dpp v99, v25, v99 row_newbcast:15 row_mask:0xf bank_mask:0xf// 0000000046D8: 0AC6C6FA FF015F19
	v_mul_f32_dpp v100, v25, v100 row_newbcast:12 row_mask:0xf bank_mask:0xf// 0000000046E0: 0AC8C8FA FF015C19
	v_mul_f32_dpp v101, v25, v101 row_newbcast:13 row_mask:0xf bank_mask:0xf// 0000000046E8: 0ACACAFA FF015D19
	v_mul_f32_dpp v102, v25, v102 row_newbcast:14 row_mask:0xf bank_mask:0xf// 0000000046F0: 0ACCCCFA FF015E19
	v_mul_f32_dpp v103, v25, v103 row_newbcast:15 row_mask:0xf bank_mask:0xf// 0000000046F8: 0ACECEFA FF015F19
	v_mul_f32_dpp v104, v26, v104 row_newbcast:0 row_mask:0xf bank_mask:0xf// 000000004700: 0AD0D0FA FF01501A
	v_mul_f32_dpp v105, v26, v105 row_newbcast:1 row_mask:0xf bank_mask:0xf// 000000004708: 0AD2D2FA FF01511A
	v_mul_f32_dpp v106, v26, v106 row_newbcast:2 row_mask:0xf bank_mask:0xf// 000000004710: 0AD4D4FA FF01521A
	v_mul_f32_dpp v107, v26, v107 row_newbcast:3 row_mask:0xf bank_mask:0xf// 000000004718: 0AD6D6FA FF01531A
	v_mul_f32_dpp v108, v26, v108 row_newbcast:0 row_mask:0xf bank_mask:0xf// 000000004720: 0AD8D8FA FF01501A
	v_mul_f32_dpp v109, v26, v109 row_newbcast:1 row_mask:0xf bank_mask:0xf// 000000004728: 0ADADAFA FF01511A
	v_mul_f32_dpp v110, v26, v110 row_newbcast:2 row_mask:0xf bank_mask:0xf// 000000004730: 0ADCDCFA FF01521A
	v_mul_f32_dpp v111, v26, v111 row_newbcast:3 row_mask:0xf bank_mask:0xf// 000000004738: 0ADEDEFA FF01531A
	v_mul_f32_dpp v112, v26, v112 row_newbcast:0 row_mask:0xf bank_mask:0xf// 000000004740: 0AE0E0FA FF01501A
	v_mul_f32_dpp v113, v26, v113 row_newbcast:1 row_mask:0xf bank_mask:0xf// 000000004748: 0AE2E2FA FF01511A
	v_mul_f32_dpp v114, v26, v114 row_newbcast:2 row_mask:0xf bank_mask:0xf// 000000004750: 0AE4E4FA FF01521A
	v_mul_f32_dpp v115, v26, v115 row_newbcast:3 row_mask:0xf bank_mask:0xf// 000000004758: 0AE6E6FA FF01531A
	v_mul_f32_dpp v116, v26, v116 row_newbcast:4 row_mask:0xf bank_mask:0xf// 000000004760: 0AE8E8FA FF01541A
	v_mul_f32_dpp v117, v26, v117 row_newbcast:5 row_mask:0xf bank_mask:0xf// 000000004768: 0AEAEAFA FF01551A
	v_mul_f32_dpp v118, v26, v118 row_newbcast:6 row_mask:0xf bank_mask:0xf// 000000004770: 0AECECFA FF01561A
	v_mul_f32_dpp v119, v26, v119 row_newbcast:7 row_mask:0xf bank_mask:0xf// 000000004778: 0AEEEEFA FF01571A
	v_mul_f32_dpp v120, v26, v120 row_newbcast:4 row_mask:0xf bank_mask:0xf// 000000004780: 0AF0F0FA FF01541A
	v_mul_f32_dpp v121, v26, v121 row_newbcast:5 row_mask:0xf bank_mask:0xf// 000000004788: 0AF2F2FA FF01551A
	v_mul_f32_dpp v122, v26, v122 row_newbcast:6 row_mask:0xf bank_mask:0xf// 000000004790: 0AF4F4FA FF01561A
	v_mul_f32_dpp v123, v26, v123 row_newbcast:7 row_mask:0xf bank_mask:0xf// 000000004798: 0AF6F6FA FF01571A
	v_mul_f32_dpp v124, v26, v124 row_newbcast:4 row_mask:0xf bank_mask:0xf// 0000000047A0: 0AF8F8FA FF01541A
	v_mul_f32_dpp v125, v26, v125 row_newbcast:5 row_mask:0xf bank_mask:0xf// 0000000047A8: 0AFAFAFA FF01551A
	v_mul_f32_dpp v126, v26, v126 row_newbcast:6 row_mask:0xf bank_mask:0xf// 0000000047B0: 0AFCFCFA FF01561A
	v_mul_f32_dpp v127, v26, v127 row_newbcast:7 row_mask:0xf bank_mask:0xf// 0000000047B8: 0AFEFEFA FF01571A
	v_mul_f32_dpp v128, v26, v128 row_newbcast:8 row_mask:0xf bank_mask:0xf// 0000000047C0: 0B0100FA FF01581A
	v_mul_f32_dpp v129, v26, v129 row_newbcast:9 row_mask:0xf bank_mask:0xf// 0000000047C8: 0B0302FA FF01591A
	v_mul_f32_dpp v130, v26, v130 row_newbcast:10 row_mask:0xf bank_mask:0xf// 0000000047D0: 0B0504FA FF015A1A
	v_mul_f32_dpp v131, v26, v131 row_newbcast:11 row_mask:0xf bank_mask:0xf// 0000000047D8: 0B0706FA FF015B1A
	v_mul_f32_dpp v132, v26, v132 row_newbcast:8 row_mask:0xf bank_mask:0xf// 0000000047E0: 0B0908FA FF01581A
	v_mul_f32_dpp v133, v26, v133 row_newbcast:9 row_mask:0xf bank_mask:0xf// 0000000047E8: 0B0B0AFA FF01591A
	v_mul_f32_dpp v134, v26, v134 row_newbcast:10 row_mask:0xf bank_mask:0xf// 0000000047F0: 0B0D0CFA FF015A1A
	v_mul_f32_dpp v135, v26, v135 row_newbcast:11 row_mask:0xf bank_mask:0xf// 0000000047F8: 0B0F0EFA FF015B1A
	v_mul_f32_dpp v136, v26, v136 row_newbcast:8 row_mask:0xf bank_mask:0xf// 000000004800: 0B1110FA FF01581A
	v_mul_f32_dpp v137, v26, v137 row_newbcast:9 row_mask:0xf bank_mask:0xf// 000000004808: 0B1312FA FF01591A
	v_mul_f32_dpp v138, v26, v138 row_newbcast:10 row_mask:0xf bank_mask:0xf// 000000004810: 0B1514FA FF015A1A
	v_mul_f32_dpp v139, v26, v139 row_newbcast:11 row_mask:0xf bank_mask:0xf// 000000004818: 0B1716FA FF015B1A
	v_mul_f32_dpp v140, v26, v140 row_newbcast:12 row_mask:0xf bank_mask:0xf// 000000004820: 0B1918FA FF015C1A
	v_mul_f32_dpp v141, v26, v141 row_newbcast:13 row_mask:0xf bank_mask:0xf// 000000004828: 0B1B1AFA FF015D1A
	v_mul_f32_dpp v142, v26, v142 row_newbcast:14 row_mask:0xf bank_mask:0xf// 000000004830: 0B1D1CFA FF015E1A
	v_mul_f32_dpp v143, v26, v143 row_newbcast:15 row_mask:0xf bank_mask:0xf// 000000004838: 0B1F1EFA FF015F1A
	v_mul_f32_dpp v144, v26, v144 row_newbcast:12 row_mask:0xf bank_mask:0xf// 000000004840: 0B2120FA FF015C1A
	v_mul_f32_dpp v145, v26, v145 row_newbcast:13 row_mask:0xf bank_mask:0xf// 000000004848: 0B2322FA FF015D1A
	v_mul_f32_dpp v146, v26, v146 row_newbcast:14 row_mask:0xf bank_mask:0xf// 000000004850: 0B2524FA FF015E1A
	v_mul_f32_dpp v147, v26, v147 row_newbcast:15 row_mask:0xf bank_mask:0xf// 000000004858: 0B2726FA FF015F1A
	v_mul_f32_dpp v148, v26, v148 row_newbcast:12 row_mask:0xf bank_mask:0xf// 000000004860: 0B2928FA FF015C1A
	v_mul_f32_dpp v149, v26, v149 row_newbcast:13 row_mask:0xf bank_mask:0xf// 000000004868: 0B2B2AFA FF015D1A
	v_mul_f32_dpp v150, v26, v150 row_newbcast:14 row_mask:0xf bank_mask:0xf// 000000004870: 0B2D2CFA FF015E1A
	v_mul_f32_dpp v151, v26, v151 row_newbcast:15 row_mask:0xf bank_mask:0xf// 000000004878: 0B2F2EFA FF015F1A
	v_mul_f32_dpp v152, v27, v152 row_newbcast:0 row_mask:0xf bank_mask:0xf// 000000004880: 0B3130FA FF01501B
	v_mul_f32_dpp v153, v27, v153 row_newbcast:1 row_mask:0xf bank_mask:0xf// 000000004888: 0B3332FA FF01511B
	v_mul_f32_dpp v154, v27, v154 row_newbcast:2 row_mask:0xf bank_mask:0xf// 000000004890: 0B3534FA FF01521B
	v_mul_f32_dpp v155, v27, v155 row_newbcast:3 row_mask:0xf bank_mask:0xf// 000000004898: 0B3736FA FF01531B
	v_mul_f32_dpp v156, v27, v156 row_newbcast:0 row_mask:0xf bank_mask:0xf// 0000000048A0: 0B3938FA FF01501B
	v_mul_f32_dpp v157, v27, v157 row_newbcast:1 row_mask:0xf bank_mask:0xf// 0000000048A8: 0B3B3AFA FF01511B
	v_mul_f32_dpp v158, v27, v158 row_newbcast:2 row_mask:0xf bank_mask:0xf// 0000000048B0: 0B3D3CFA FF01521B
	v_mul_f32_dpp v159, v27, v159 row_newbcast:3 row_mask:0xf bank_mask:0xf// 0000000048B8: 0B3F3EFA FF01531B
	v_mul_f32_dpp v160, v27, v160 row_newbcast:0 row_mask:0xf bank_mask:0xf// 0000000048C0: 0B4140FA FF01501B
	v_mul_f32_dpp v161, v27, v161 row_newbcast:1 row_mask:0xf bank_mask:0xf// 0000000048C8: 0B4342FA FF01511B
	v_mul_f32_dpp v162, v27, v162 row_newbcast:2 row_mask:0xf bank_mask:0xf// 0000000048D0: 0B4544FA FF01521B
	v_mul_f32_dpp v163, v27, v163 row_newbcast:3 row_mask:0xf bank_mask:0xf// 0000000048D8: 0B4746FA FF01531B
	v_mul_f32_dpp v164, v27, v164 row_newbcast:4 row_mask:0xf bank_mask:0xf// 0000000048E0: 0B4948FA FF01541B
	v_mul_f32_dpp v165, v27, v165 row_newbcast:5 row_mask:0xf bank_mask:0xf// 0000000048E8: 0B4B4AFA FF01551B
	v_mul_f32_dpp v166, v27, v166 row_newbcast:6 row_mask:0xf bank_mask:0xf// 0000000048F0: 0B4D4CFA FF01561B
	v_mul_f32_dpp v167, v27, v167 row_newbcast:7 row_mask:0xf bank_mask:0xf// 0000000048F8: 0B4F4EFA FF01571B
	v_mul_f32_dpp v168, v27, v168 row_newbcast:4 row_mask:0xf bank_mask:0xf// 000000004900: 0B5150FA FF01541B
	v_mul_f32_dpp v169, v27, v169 row_newbcast:5 row_mask:0xf bank_mask:0xf// 000000004908: 0B5352FA FF01551B
	v_mul_f32_dpp v170, v27, v170 row_newbcast:6 row_mask:0xf bank_mask:0xf// 000000004910: 0B5554FA FF01561B
	v_mul_f32_dpp v171, v27, v171 row_newbcast:7 row_mask:0xf bank_mask:0xf// 000000004918: 0B5756FA FF01571B
	v_mul_f32_dpp v172, v27, v172 row_newbcast:4 row_mask:0xf bank_mask:0xf// 000000004920: 0B5958FA FF01541B
	v_mul_f32_dpp v173, v27, v173 row_newbcast:5 row_mask:0xf bank_mask:0xf// 000000004928: 0B5B5AFA FF01551B
	v_mul_f32_dpp v174, v27, v174 row_newbcast:6 row_mask:0xf bank_mask:0xf// 000000004930: 0B5D5CFA FF01561B
	v_mul_f32_dpp v175, v27, v175 row_newbcast:7 row_mask:0xf bank_mask:0xf// 000000004938: 0B5F5EFA FF01571B
	v_mul_f32_dpp v176, v27, v176 row_newbcast:8 row_mask:0xf bank_mask:0xf// 000000004940: 0B6160FA FF01581B
	v_mul_f32_dpp v177, v27, v177 row_newbcast:9 row_mask:0xf bank_mask:0xf// 000000004948: 0B6362FA FF01591B
	v_mul_f32_dpp v178, v27, v178 row_newbcast:10 row_mask:0xf bank_mask:0xf// 000000004950: 0B6564FA FF015A1B
	v_mul_f32_dpp v179, v27, v179 row_newbcast:11 row_mask:0xf bank_mask:0xf// 000000004958: 0B6766FA FF015B1B
	v_mul_f32_dpp v180, v27, v180 row_newbcast:8 row_mask:0xf bank_mask:0xf// 000000004960: 0B6968FA FF01581B
	v_mul_f32_dpp v181, v27, v181 row_newbcast:9 row_mask:0xf bank_mask:0xf// 000000004968: 0B6B6AFA FF01591B
	v_mul_f32_dpp v182, v27, v182 row_newbcast:10 row_mask:0xf bank_mask:0xf// 000000004970: 0B6D6CFA FF015A1B
	v_mul_f32_dpp v183, v27, v183 row_newbcast:11 row_mask:0xf bank_mask:0xf// 000000004978: 0B6F6EFA FF015B1B
	v_mul_f32_dpp v184, v27, v184 row_newbcast:8 row_mask:0xf bank_mask:0xf// 000000004980: 0B7170FA FF01581B
	v_mul_f32_dpp v185, v27, v185 row_newbcast:9 row_mask:0xf bank_mask:0xf// 000000004988: 0B7372FA FF01591B
	v_mul_f32_dpp v186, v27, v186 row_newbcast:10 row_mask:0xf bank_mask:0xf// 000000004990: 0B7574FA FF015A1B
	v_mul_f32_dpp v187, v27, v187 row_newbcast:11 row_mask:0xf bank_mask:0xf// 000000004998: 0B7776FA FF015B1B
	v_mul_f32_dpp v188, v27, v188 row_newbcast:12 row_mask:0xf bank_mask:0xf// 0000000049A0: 0B7978FA FF015C1B
	v_mul_f32_dpp v189, v27, v189 row_newbcast:13 row_mask:0xf bank_mask:0xf// 0000000049A8: 0B7B7AFA FF015D1B
	v_mul_f32_dpp v190, v27, v190 row_newbcast:14 row_mask:0xf bank_mask:0xf// 0000000049B0: 0B7D7CFA FF015E1B
	v_mul_f32_dpp v191, v27, v191 row_newbcast:15 row_mask:0xf bank_mask:0xf// 0000000049B8: 0B7F7EFA FF015F1B
	v_mul_f32_dpp v192, v27, v192 row_newbcast:12 row_mask:0xf bank_mask:0xf// 0000000049C0: 0B8180FA FF015C1B
	v_mul_f32_dpp v193, v27, v193 row_newbcast:13 row_mask:0xf bank_mask:0xf// 0000000049C8: 0B8382FA FF015D1B
	v_mul_f32_dpp v194, v27, v194 row_newbcast:14 row_mask:0xf bank_mask:0xf// 0000000049D0: 0B8584FA FF015E1B
	v_mul_f32_dpp v195, v27, v195 row_newbcast:15 row_mask:0xf bank_mask:0xf// 0000000049D8: 0B8786FA FF015F1B
	v_mul_f32_dpp v196, v27, v196 row_newbcast:12 row_mask:0xf bank_mask:0xf// 0000000049E0: 0B8988FA FF015C1B
	v_mul_f32_dpp v197, v27, v197 row_newbcast:13 row_mask:0xf bank_mask:0xf// 0000000049E8: 0B8B8AFA FF015D1B
	v_mul_f32_dpp v198, v27, v198 row_newbcast:14 row_mask:0xf bank_mask:0xf// 0000000049F0: 0B8D8CFA FF015E1B
	v_mul_f32_dpp v199, v27, v199 row_newbcast:15 row_mask:0xf bank_mask:0xf// 0000000049F8: 0B8F8EFA FF015F1B
	v_mul_f32_dpp v200, v28, v200 row_newbcast:0 row_mask:0xf bank_mask:0xf// 000000004A00: 0B9190FA FF01501C
	v_mul_f32_dpp v201, v28, v201 row_newbcast:1 row_mask:0xf bank_mask:0xf// 000000004A08: 0B9392FA FF01511C
	v_mul_f32_dpp v202, v28, v202 row_newbcast:2 row_mask:0xf bank_mask:0xf// 000000004A10: 0B9594FA FF01521C
	v_mul_f32_dpp v203, v28, v203 row_newbcast:3 row_mask:0xf bank_mask:0xf// 000000004A18: 0B9796FA FF01531C
	v_mul_f32_dpp v204, v28, v204 row_newbcast:0 row_mask:0xf bank_mask:0xf// 000000004A20: 0B9998FA FF01501C
	v_mul_f32_dpp v205, v28, v205 row_newbcast:1 row_mask:0xf bank_mask:0xf// 000000004A28: 0B9B9AFA FF01511C
	v_mul_f32_dpp v206, v28, v206 row_newbcast:2 row_mask:0xf bank_mask:0xf// 000000004A30: 0B9D9CFA FF01521C
	v_mul_f32_dpp v207, v28, v207 row_newbcast:3 row_mask:0xf bank_mask:0xf// 000000004A38: 0B9F9EFA FF01531C
	v_mul_f32_dpp v208, v28, v208 row_newbcast:0 row_mask:0xf bank_mask:0xf// 000000004A40: 0BA1A0FA FF01501C
	v_mul_f32_dpp v209, v28, v209 row_newbcast:1 row_mask:0xf bank_mask:0xf// 000000004A48: 0BA3A2FA FF01511C
	v_mul_f32_dpp v210, v28, v210 row_newbcast:2 row_mask:0xf bank_mask:0xf// 000000004A50: 0BA5A4FA FF01521C
	v_mul_f32_dpp v211, v28, v211 row_newbcast:3 row_mask:0xf bank_mask:0xf// 000000004A58: 0BA7A6FA FF01531C
	v_mul_f32_dpp v212, v28, v212 row_newbcast:4 row_mask:0xf bank_mask:0xf// 000000004A60: 0BA9A8FA FF01541C
	v_mul_f32_dpp v213, v28, v213 row_newbcast:5 row_mask:0xf bank_mask:0xf// 000000004A68: 0BABAAFA FF01551C
	v_mul_f32_dpp v214, v28, v214 row_newbcast:6 row_mask:0xf bank_mask:0xf// 000000004A70: 0BADACFA FF01561C
	v_mul_f32_dpp v215, v28, v215 row_newbcast:7 row_mask:0xf bank_mask:0xf// 000000004A78: 0BAFAEFA FF01571C
	v_mul_f32_dpp v216, v28, v216 row_newbcast:4 row_mask:0xf bank_mask:0xf// 000000004A80: 0BB1B0FA FF01541C
	v_mul_f32_dpp v217, v28, v217 row_newbcast:5 row_mask:0xf bank_mask:0xf// 000000004A88: 0BB3B2FA FF01551C
	v_mul_f32_dpp v218, v28, v218 row_newbcast:6 row_mask:0xf bank_mask:0xf// 000000004A90: 0BB5B4FA FF01561C
	v_mul_f32_dpp v219, v28, v219 row_newbcast:7 row_mask:0xf bank_mask:0xf// 000000004A98: 0BB7B6FA FF01571C
	v_mul_f32_dpp v220, v28, v220 row_newbcast:4 row_mask:0xf bank_mask:0xf// 000000004AA0: 0BB9B8FA FF01541C
	v_mul_f32_dpp v221, v28, v221 row_newbcast:5 row_mask:0xf bank_mask:0xf// 000000004AA8: 0BBBBAFA FF01551C
	v_mul_f32_dpp v222, v28, v222 row_newbcast:6 row_mask:0xf bank_mask:0xf// 000000004AB0: 0BBDBCFA FF01561C
	v_mul_f32_dpp v223, v28, v223 row_newbcast:7 row_mask:0xf bank_mask:0xf// 000000004AB8: 0BBFBEFA FF01571C
	v_mul_f32_dpp v224, v28, v224 row_newbcast:8 row_mask:0xf bank_mask:0xf// 000000004AC0: 0BC1C0FA FF01581C
	v_mul_f32_dpp v225, v28, v225 row_newbcast:9 row_mask:0xf bank_mask:0xf// 000000004AC8: 0BC3C2FA FF01591C
	v_mul_f32_dpp v226, v28, v226 row_newbcast:10 row_mask:0xf bank_mask:0xf// 000000004AD0: 0BC5C4FA FF015A1C
	v_mul_f32_dpp v227, v28, v227 row_newbcast:11 row_mask:0xf bank_mask:0xf// 000000004AD8: 0BC7C6FA FF015B1C
	v_mul_f32_dpp v228, v28, v228 row_newbcast:8 row_mask:0xf bank_mask:0xf// 000000004AE0: 0BC9C8FA FF01581C
	v_mul_f32_dpp v229, v28, v229 row_newbcast:9 row_mask:0xf bank_mask:0xf// 000000004AE8: 0BCBCAFA FF01591C
	v_mul_f32_dpp v230, v28, v230 row_newbcast:10 row_mask:0xf bank_mask:0xf// 000000004AF0: 0BCDCCFA FF015A1C
	v_mul_f32_dpp v231, v28, v231 row_newbcast:11 row_mask:0xf bank_mask:0xf// 000000004AF8: 0BCFCEFA FF015B1C
	v_mul_f32_dpp v232, v28, v232 row_newbcast:8 row_mask:0xf bank_mask:0xf// 000000004B00: 0BD1D0FA FF01581C
	v_mul_f32_dpp v233, v28, v233 row_newbcast:9 row_mask:0xf bank_mask:0xf// 000000004B08: 0BD3D2FA FF01591C
	v_mul_f32_dpp v234, v28, v234 row_newbcast:10 row_mask:0xf bank_mask:0xf// 000000004B10: 0BD5D4FA FF015A1C
	v_mul_f32_dpp v235, v28, v235 row_newbcast:11 row_mask:0xf bank_mask:0xf// 000000004B18: 0BD7D6FA FF015B1C
	v_mul_f32_dpp v236, v28, v236 row_newbcast:12 row_mask:0xf bank_mask:0xf// 000000004B20: 0BD9D8FA FF015C1C
	v_mul_f32_dpp v237, v28, v237 row_newbcast:13 row_mask:0xf bank_mask:0xf// 000000004B28: 0BDBDAFA FF015D1C
	v_mul_f32_dpp v238, v28, v238 row_newbcast:14 row_mask:0xf bank_mask:0xf// 000000004B30: 0BDDDCFA FF015E1C
	v_mul_f32_dpp v239, v28, v239 row_newbcast:15 row_mask:0xf bank_mask:0xf// 000000004B38: 0BDFDEFA FF015F1C
	v_mul_f32_dpp v240, v28, v240 row_newbcast:12 row_mask:0xf bank_mask:0xf// 000000004B40: 0BE1E0FA FF015C1C
	v_mul_f32_dpp v241, v28, v241 row_newbcast:13 row_mask:0xf bank_mask:0xf// 000000004B48: 0BE3E2FA FF015D1C
	v_mul_f32_dpp v242, v28, v242 row_newbcast:14 row_mask:0xf bank_mask:0xf// 000000004B50: 0BE5E4FA FF015E1C
	v_mul_f32_dpp v243, v28, v243 row_newbcast:15 row_mask:0xf bank_mask:0xf// 000000004B58: 0BE7E6FA FF015F1C
	v_mul_f32_dpp v244, v28, v244 row_newbcast:12 row_mask:0xf bank_mask:0xf// 000000004B60: 0BE9E8FA FF015C1C
	v_mul_f32_dpp v245, v28, v245 row_newbcast:13 row_mask:0xf bank_mask:0xf// 000000004B68: 0BEBEAFA FF015D1C
	v_mul_f32_dpp v246, v28, v246 row_newbcast:14 row_mask:0xf bank_mask:0xf// 000000004B70: 0BEDECFA FF015E1C
	v_mul_f32_dpp v247, v28, v247 row_newbcast:15 row_mask:0xf bank_mask:0xf// 000000004B78: 0BEFEEFA FF015F1C
	v_mul_f32_e32 v32, v32, v248                               // 000000004B80: 0A41F120
	v_mov_b32_e32 v4, v32                                      // 000000004B84: 7E080320
	v_mov_b32_e32 v5, v4                                       // 000000004B88: 7E0A0304
	v_pk_mul_f32 v[56:57], v[4:5], v[56:57]                    // 000000004B8C: D3B14038 18027104
	v_pk_mul_f32 v[152:153], v[4:5], v[152:153]                // 000000004B94: D3B14098 18033104
	v_pk_mul_f32 v[58:59], v[4:5], v[58:59]                    // 000000004B9C: D3B1403A 18027504
	v_pk_mul_f32 v[154:155], v[4:5], v[154:155]                // 000000004BA4: D3B1409A 18033504
	v_pk_mul_f32 v[68:69], v[4:5], v[68:69]                    // 000000004BAC: D3B14044 18028904
	v_pk_mul_f32 v[164:165], v[4:5], v[164:165]                // 000000004BB4: D3B140A4 18034904
	v_pk_mul_f32 v[70:71], v[4:5], v[70:71]                    // 000000004BBC: D3B14046 18028D04
	v_pk_mul_f32 v[166:167], v[4:5], v[166:167]                // 000000004BC4: D3B140A6 18034D04
	v_pk_mul_f32 v[80:81], v[4:5], v[80:81]                    // 000000004BCC: D3B14050 1802A104
	v_pk_mul_f32 v[176:177], v[4:5], v[176:177]                // 000000004BD4: D3B140B0 18036104
	v_pk_mul_f32 v[82:83], v[4:5], v[82:83]                    // 000000004BDC: D3B14052 1802A504
	v_pk_mul_f32 v[178:179], v[4:5], v[178:179]                // 000000004BE4: D3B140B2 18036504
	v_pk_mul_f32 v[92:93], v[4:5], v[92:93]                    // 000000004BEC: D3B1405C 1802B904
	v_pk_mul_f32 v[188:189], v[4:5], v[188:189]                // 000000004BF4: D3B140BC 18037904
	v_pk_mul_f32 v[94:95], v[4:5], v[94:95]                    // 000000004BFC: D3B1405E 1802BD04
	v_pk_mul_f32 v[190:191], v[4:5], v[190:191]                // 000000004C04: D3B140BE 18037D04
	v_pk_mul_f32 v[104:105], v[4:5], v[104:105]                // 000000004C0C: D3B14068 1802D104
	v_pk_mul_f32 v[200:201], v[4:5], v[200:201]                // 000000004C14: D3B140C8 18039104
	v_pk_mul_f32 v[106:107], v[4:5], v[106:107]                // 000000004C1C: D3B1406A 1802D504
	v_pk_mul_f32 v[202:203], v[4:5], v[202:203]                // 000000004C24: D3B140CA 18039504
	v_pk_mul_f32 v[116:117], v[4:5], v[116:117]                // 000000004C2C: D3B14074 1802E904
	v_pk_mul_f32 v[212:213], v[4:5], v[212:213]                // 000000004C34: D3B140D4 1803A904
	v_pk_mul_f32 v[118:119], v[4:5], v[118:119]                // 000000004C3C: D3B14076 1802ED04
	v_pk_mul_f32 v[214:215], v[4:5], v[214:215]                // 000000004C44: D3B140D6 1803AD04
	v_pk_mul_f32 v[128:129], v[4:5], v[128:129]                // 000000004C4C: D3B14080 18030104
	v_pk_mul_f32 v[224:225], v[4:5], v[224:225]                // 000000004C54: D3B140E0 1803C104
	v_pk_mul_f32 v[130:131], v[4:5], v[130:131]                // 000000004C5C: D3B14082 18030504
	v_pk_mul_f32 v[226:227], v[4:5], v[226:227]                // 000000004C64: D3B140E2 1803C504
	v_pk_mul_f32 v[140:141], v[4:5], v[140:141]                // 000000004C6C: D3B1408C 18031904
	v_pk_mul_f32 v[236:237], v[4:5], v[236:237]                // 000000004C74: D3B140EC 1803D904
	v_pk_mul_f32 v[142:143], v[4:5], v[142:143]                // 000000004C7C: D3B1408E 18031D04
	v_pk_mul_f32 v[238:239], v[4:5], v[238:239]                // 000000004C84: D3B140EE 1803DD04
	v_mul_f32_e32 v33, v33, v249                               // 000000004C8C: 0A43F321
	v_mov_b32_e32 v4, v33                                      // 000000004C90: 7E080321
	v_mov_b32_e32 v5, v4                                       // 000000004C94: 7E0A0304
	v_pk_mul_f32 v[60:61], v[4:5], v[60:61]                    // 000000004C98: D3B1403C 18027904
	v_pk_mul_f32 v[156:157], v[4:5], v[156:157]                // 000000004CA0: D3B1409C 18033904
	v_pk_mul_f32 v[62:63], v[4:5], v[62:63]                    // 000000004CA8: D3B1403E 18027D04
	v_pk_mul_f32 v[158:159], v[4:5], v[158:159]                // 000000004CB0: D3B1409E 18033D04
	v_pk_mul_f32 v[72:73], v[4:5], v[72:73]                    // 000000004CB8: D3B14048 18029104
	v_pk_mul_f32 v[168:169], v[4:5], v[168:169]                // 000000004CC0: D3B140A8 18035104
	v_pk_mul_f32 v[74:75], v[4:5], v[74:75]                    // 000000004CC8: D3B1404A 18029504
	v_pk_mul_f32 v[170:171], v[4:5], v[170:171]                // 000000004CD0: D3B140AA 18035504
	v_pk_mul_f32 v[84:85], v[4:5], v[84:85]                    // 000000004CD8: D3B14054 1802A904
	v_pk_mul_f32 v[180:181], v[4:5], v[180:181]                // 000000004CE0: D3B140B4 18036904
	v_pk_mul_f32 v[86:87], v[4:5], v[86:87]                    // 000000004CE8: D3B14056 1802AD04
	v_pk_mul_f32 v[182:183], v[4:5], v[182:183]                // 000000004CF0: D3B140B6 18036D04
	v_pk_mul_f32 v[96:97], v[4:5], v[96:97]                    // 000000004CF8: D3B14060 1802C104
	v_pk_mul_f32 v[192:193], v[4:5], v[192:193]                // 000000004D00: D3B140C0 18038104
	v_pk_mul_f32 v[98:99], v[4:5], v[98:99]                    // 000000004D08: D3B14062 1802C504
	v_pk_mul_f32 v[194:195], v[4:5], v[194:195]                // 000000004D10: D3B140C2 18038504
	v_pk_mul_f32 v[108:109], v[4:5], v[108:109]                // 000000004D18: D3B1406C 1802D904
	v_pk_mul_f32 v[204:205], v[4:5], v[204:205]                // 000000004D20: D3B140CC 18039904
	v_pk_mul_f32 v[110:111], v[4:5], v[110:111]                // 000000004D28: D3B1406E 1802DD04
	v_pk_mul_f32 v[206:207], v[4:5], v[206:207]                // 000000004D30: D3B140CE 18039D04
	v_pk_mul_f32 v[120:121], v[4:5], v[120:121]                // 000000004D38: D3B14078 1802F104
	v_pk_mul_f32 v[216:217], v[4:5], v[216:217]                // 000000004D40: D3B140D8 1803B104
	v_pk_mul_f32 v[122:123], v[4:5], v[122:123]                // 000000004D48: D3B1407A 1802F504
	v_pk_mul_f32 v[218:219], v[4:5], v[218:219]                // 000000004D50: D3B140DA 1803B504
	v_pk_mul_f32 v[132:133], v[4:5], v[132:133]                // 000000004D58: D3B14084 18030904
	v_pk_mul_f32 v[228:229], v[4:5], v[228:229]                // 000000004D60: D3B140E4 1803C904
	v_pk_mul_f32 v[134:135], v[4:5], v[134:135]                // 000000004D68: D3B14086 18030D04
	v_pk_mul_f32 v[230:231], v[4:5], v[230:231]                // 000000004D70: D3B140E6 1803CD04
	v_pk_mul_f32 v[144:145], v[4:5], v[144:145]                // 000000004D78: D3B14090 18032104
	v_pk_mul_f32 v[240:241], v[4:5], v[240:241]                // 000000004D80: D3B140F0 1803E104
	v_pk_mul_f32 v[146:147], v[4:5], v[146:147]                // 000000004D88: D3B14092 18032504
	v_pk_mul_f32 v[242:243], v[4:5], v[242:243]                // 000000004D90: D3B140F2 1803E504
	v_mul_f32_e32 v34, v34, v250                               // 000000004D98: 0A45F522
	v_mov_b32_e32 v4, v34                                      // 000000004D9C: 7E080322
	v_mov_b32_e32 v5, v4                                       // 000000004DA0: 7E0A0304
	v_pk_mul_f32 v[64:65], v[4:5], v[64:65]                    // 000000004DA4: D3B14040 18028104
	v_pk_mul_f32 v[160:161], v[4:5], v[160:161]                // 000000004DAC: D3B140A0 18034104
	v_pk_mul_f32 v[66:67], v[4:5], v[66:67]                    // 000000004DB4: D3B14042 18028504
	v_pk_mul_f32 v[162:163], v[4:5], v[162:163]                // 000000004DBC: D3B140A2 18034504
	v_pk_mul_f32 v[76:77], v[4:5], v[76:77]                    // 000000004DC4: D3B1404C 18029904
	v_pk_mul_f32 v[172:173], v[4:5], v[172:173]                // 000000004DCC: D3B140AC 18035904
	v_pk_mul_f32 v[78:79], v[4:5], v[78:79]                    // 000000004DD4: D3B1404E 18029D04
	v_pk_mul_f32 v[174:175], v[4:5], v[174:175]                // 000000004DDC: D3B140AE 18035D04
	v_pk_mul_f32 v[88:89], v[4:5], v[88:89]                    // 000000004DE4: D3B14058 1802B104
	v_pk_mul_f32 v[184:185], v[4:5], v[184:185]                // 000000004DEC: D3B140B8 18037104
	v_pk_mul_f32 v[90:91], v[4:5], v[90:91]                    // 000000004DF4: D3B1405A 1802B504
	v_pk_mul_f32 v[186:187], v[4:5], v[186:187]                // 000000004DFC: D3B140BA 18037504
	v_pk_mul_f32 v[100:101], v[4:5], v[100:101]                // 000000004E04: D3B14064 1802C904
	v_pk_mul_f32 v[196:197], v[4:5], v[196:197]                // 000000004E0C: D3B140C4 18038904
	v_pk_mul_f32 v[102:103], v[4:5], v[102:103]                // 000000004E14: D3B14066 1802CD04
	v_pk_mul_f32 v[198:199], v[4:5], v[198:199]                // 000000004E1C: D3B140C6 18038D04
	v_pk_mul_f32 v[112:113], v[4:5], v[112:113]                // 000000004E24: D3B14070 1802E104
	v_pk_mul_f32 v[208:209], v[4:5], v[208:209]                // 000000004E2C: D3B140D0 1803A104
	v_pk_mul_f32 v[114:115], v[4:5], v[114:115]                // 000000004E34: D3B14072 1802E504
	v_pk_mul_f32 v[210:211], v[4:5], v[210:211]                // 000000004E3C: D3B140D2 1803A504
	v_pk_mul_f32 v[124:125], v[4:5], v[124:125]                // 000000004E44: D3B1407C 1802F904
	v_pk_mul_f32 v[220:221], v[4:5], v[220:221]                // 000000004E4C: D3B140DC 1803B904
	v_pk_mul_f32 v[126:127], v[4:5], v[126:127]                // 000000004E54: D3B1407E 1802FD04
	v_pk_mul_f32 v[222:223], v[4:5], v[222:223]                // 000000004E5C: D3B140DE 1803BD04
	v_pk_mul_f32 v[136:137], v[4:5], v[136:137]                // 000000004E64: D3B14088 18031104
	v_pk_mul_f32 v[232:233], v[4:5], v[232:233]                // 000000004E6C: D3B140E8 1803D104
	v_pk_mul_f32 v[138:139], v[4:5], v[138:139]                // 000000004E74: D3B1408A 18031504
	v_pk_mul_f32 v[234:235], v[4:5], v[234:235]                // 000000004E7C: D3B140EA 1803D504
	v_pk_mul_f32 v[148:149], v[4:5], v[148:149]                // 000000004E84: D3B14094 18032904
	v_pk_mul_f32 v[244:245], v[4:5], v[244:245]                // 000000004E8C: D3B140F4 1803E904
	v_pk_mul_f32 v[150:151], v[4:5], v[150:151]                // 000000004E94: D3B14096 18032D04
	v_pk_mul_f32 v[246:247], v[4:5], v[246:247]                // 000000004E9C: D3B140F6 1803ED04
	s_cmp_eq_u32 s88, 0                                        // 000000004EA4: BF068058
	s_cbranch_scc0 label_1480                                  // 000000004EA8: BF840B55
	s_cmp_eq_u32 s89, 0                                        // 000000004EAC: BF068059
	s_cbranch_scc1 label_0CF2                                  // 000000004EB0: BF8503C5
	v_mov_b32_e32 v8, v1                                       // 000000004EB4: 7E100301
	v_mov_b32_e32 v9, v1                                       // 000000004EB8: 7E120301
	s_mov_b32 s60, s6                                          // 000000004EBC: BEBC0006
	s_mov_b32 s61, s6                                          // 000000004EC0: BEBD0006
	v_pk_mul_f32 v[4:5], v[56:57], v[56:57]                    // 000000004EC4: D3B14004 18027138
	v_pk_mul_f32 v[6:7], v[58:59], v[58:59]                    // 000000004ECC: D3B14006 1802753A
	v_pk_fma_f32 v[4:5], v[4:5], s[78:79], v[8:9]              // 000000004ED4: D3B04004 1C209D04
	v_pk_fma_f32 v[6:7], v[6:7], s[78:79], v[8:9]              // 000000004EDC: D3B04006 1C209D06
	v_pk_mul_f32 v[4:5], v[4:5], v[56:57]                      // 000000004EE4: D3B14004 18027104
	v_pk_mul_f32 v[6:7], v[6:7], v[58:59]                      // 000000004EEC: D3B14006 18027506
	v_pk_mul_f32 v[4:5], v[4:5], s[60:61]                      // 000000004EF4: D3B14004 18007904
	v_pk_mul_f32 v[6:7], v[6:7], s[60:61]                      // 000000004EFC: D3B14006 18007906
	v_exp_f32_e32 v4, v4                                       // 000000004F04: 7E084104
	v_exp_f32_e32 v5, v5                                       // 000000004F08: 7E0A4105
	v_exp_f32_e32 v6, v6                                       // 000000004F0C: 7E0C4106
	v_exp_f32_e32 v7, v7                                       // 000000004F10: 7E0E4107
	v_add_f32_e64 v4, v4, 1.0                                  // 000000004F14: D1010004 0001E504
	v_add_f32_e64 v5, v5, 1.0                                  // 000000004F1C: D1010005 0001E505
	v_add_f32_e64 v6, v6, 1.0                                  // 000000004F24: D1010006 0001E506
	v_add_f32_e64 v7, v7, 1.0                                  // 000000004F2C: D1010007 0001E507
	v_rcp_f32_e32 v4, v4                                       // 000000004F34: 7E084504
	v_rcp_f32_e32 v5, v5                                       // 000000004F38: 7E0A4505
	v_rcp_f32_e32 v6, v6                                       // 000000004F3C: 7E0C4506
	v_rcp_f32_e32 v7, v7                                       // 000000004F40: 7E0E4507
	v_mul_f32_e32 v56, v56, v4                                 // 000000004F44: 0A700938
	v_mul_f32_e32 v57, v57, v5                                 // 000000004F48: 0A720B39
	v_mul_f32_e32 v58, v58, v6                                 // 000000004F4C: 0A740D3A
	v_mul_f32_e32 v59, v59, v7                                 // 000000004F50: 0A760F3B
	v_mul_f32_e32 v56, v56, v152                               // 000000004F54: 0A713138
	v_mul_f32_e32 v57, v57, v153                               // 000000004F58: 0A733339
	v_mul_f32_e32 v58, v58, v154                               // 000000004F5C: 0A75353A
	v_mul_f32_e32 v59, v59, v155                               // 000000004F60: 0A77373B
	v_pk_mul_f32 v[4:5], v[60:61], v[60:61]                    // 000000004F64: D3B14004 1802793C
	v_pk_mul_f32 v[6:7], v[62:63], v[62:63]                    // 000000004F6C: D3B14006 18027D3E
	v_pk_fma_f32 v[4:5], v[4:5], s[78:79], v[8:9]              // 000000004F74: D3B04004 1C209D04
	v_pk_fma_f32 v[6:7], v[6:7], s[78:79], v[8:9]              // 000000004F7C: D3B04006 1C209D06
	v_pk_mul_f32 v[4:5], v[4:5], v[60:61]                      // 000000004F84: D3B14004 18027904
	v_pk_mul_f32 v[6:7], v[6:7], v[62:63]                      // 000000004F8C: D3B14006 18027D06
	v_pk_mul_f32 v[4:5], v[4:5], s[60:61]                      // 000000004F94: D3B14004 18007904
	v_pk_mul_f32 v[6:7], v[6:7], s[60:61]                      // 000000004F9C: D3B14006 18007906
	v_exp_f32_e32 v4, v4                                       // 000000004FA4: 7E084104
	v_exp_f32_e32 v5, v5                                       // 000000004FA8: 7E0A4105
	v_exp_f32_e32 v6, v6                                       // 000000004FAC: 7E0C4106
	v_exp_f32_e32 v7, v7                                       // 000000004FB0: 7E0E4107
	v_add_f32_e64 v4, v4, 1.0                                  // 000000004FB4: D1010004 0001E504
	v_add_f32_e64 v5, v5, 1.0                                  // 000000004FBC: D1010005 0001E505
	v_add_f32_e64 v6, v6, 1.0                                  // 000000004FC4: D1010006 0001E506
	v_add_f32_e64 v7, v7, 1.0                                  // 000000004FCC: D1010007 0001E507
	v_rcp_f32_e32 v4, v4                                       // 000000004FD4: 7E084504
	v_rcp_f32_e32 v5, v5                                       // 000000004FD8: 7E0A4505
	v_rcp_f32_e32 v6, v6                                       // 000000004FDC: 7E0C4506
	v_rcp_f32_e32 v7, v7                                       // 000000004FE0: 7E0E4507
	v_mul_f32_e32 v60, v60, v4                                 // 000000004FE4: 0A78093C
	v_mul_f32_e32 v61, v61, v5                                 // 000000004FE8: 0A7A0B3D
	v_mul_f32_e32 v62, v62, v6                                 // 000000004FEC: 0A7C0D3E
	v_mul_f32_e32 v63, v63, v7                                 // 000000004FF0: 0A7E0F3F
	v_mul_f32_e32 v60, v60, v156                               // 000000004FF4: 0A79393C
	v_mul_f32_e32 v61, v61, v157                               // 000000004FF8: 0A7B3B3D
	v_mul_f32_e32 v62, v62, v158                               // 000000004FFC: 0A7D3D3E
	v_mul_f32_e32 v63, v63, v159                               // 000000005000: 0A7F3F3F
	v_pk_mul_f32 v[4:5], v[64:65], v[64:65]                    // 000000005004: D3B14004 18028140
	v_pk_mul_f32 v[6:7], v[66:67], v[66:67]                    // 00000000500C: D3B14006 18028542
	v_pk_fma_f32 v[4:5], v[4:5], s[78:79], v[8:9]              // 000000005014: D3B04004 1C209D04
	v_pk_fma_f32 v[6:7], v[6:7], s[78:79], v[8:9]              // 00000000501C: D3B04006 1C209D06
	v_pk_mul_f32 v[4:5], v[4:5], v[64:65]                      // 000000005024: D3B14004 18028104
	v_pk_mul_f32 v[6:7], v[6:7], v[66:67]                      // 00000000502C: D3B14006 18028506
	v_pk_mul_f32 v[4:5], v[4:5], s[60:61]                      // 000000005034: D3B14004 18007904
	v_pk_mul_f32 v[6:7], v[6:7], s[60:61]                      // 00000000503C: D3B14006 18007906
	v_exp_f32_e32 v4, v4                                       // 000000005044: 7E084104
	v_exp_f32_e32 v5, v5                                       // 000000005048: 7E0A4105
	v_exp_f32_e32 v6, v6                                       // 00000000504C: 7E0C4106
	v_exp_f32_e32 v7, v7                                       // 000000005050: 7E0E4107
	v_add_f32_e64 v4, v4, 1.0                                  // 000000005054: D1010004 0001E504
	v_add_f32_e64 v5, v5, 1.0                                  // 00000000505C: D1010005 0001E505
	v_add_f32_e64 v6, v6, 1.0                                  // 000000005064: D1010006 0001E506
	v_add_f32_e64 v7, v7, 1.0                                  // 00000000506C: D1010007 0001E507
	v_rcp_f32_e32 v4, v4                                       // 000000005074: 7E084504
	v_rcp_f32_e32 v5, v5                                       // 000000005078: 7E0A4505
	v_rcp_f32_e32 v6, v6                                       // 00000000507C: 7E0C4506
	v_rcp_f32_e32 v7, v7                                       // 000000005080: 7E0E4507
	v_mul_f32_e32 v64, v64, v4                                 // 000000005084: 0A800940
	v_mul_f32_e32 v65, v65, v5                                 // 000000005088: 0A820B41
	v_mul_f32_e32 v66, v66, v6                                 // 00000000508C: 0A840D42
	v_mul_f32_e32 v67, v67, v7                                 // 000000005090: 0A860F43
	v_mul_f32_e32 v64, v64, v160                               // 000000005094: 0A814140
	v_mul_f32_e32 v65, v65, v161                               // 000000005098: 0A834341
	v_mul_f32_e32 v66, v66, v162                               // 00000000509C: 0A854542
	v_mul_f32_e32 v67, v67, v163                               // 0000000050A0: 0A874743
	v_pk_mul_f32 v[4:5], v[68:69], v[68:69]                    // 0000000050A4: D3B14004 18028944
	v_pk_mul_f32 v[6:7], v[70:71], v[70:71]                    // 0000000050AC: D3B14006 18028D46
	v_pk_fma_f32 v[4:5], v[4:5], s[78:79], v[8:9]              // 0000000050B4: D3B04004 1C209D04
	v_pk_fma_f32 v[6:7], v[6:7], s[78:79], v[8:9]              // 0000000050BC: D3B04006 1C209D06
	v_pk_mul_f32 v[4:5], v[4:5], v[68:69]                      // 0000000050C4: D3B14004 18028904
	v_pk_mul_f32 v[6:7], v[6:7], v[70:71]                      // 0000000050CC: D3B14006 18028D06
	v_pk_mul_f32 v[4:5], v[4:5], s[60:61]                      // 0000000050D4: D3B14004 18007904
	v_pk_mul_f32 v[6:7], v[6:7], s[60:61]                      // 0000000050DC: D3B14006 18007906
	v_exp_f32_e32 v4, v4                                       // 0000000050E4: 7E084104
	v_exp_f32_e32 v5, v5                                       // 0000000050E8: 7E0A4105
	v_exp_f32_e32 v6, v6                                       // 0000000050EC: 7E0C4106
	v_exp_f32_e32 v7, v7                                       // 0000000050F0: 7E0E4107
	v_add_f32_e64 v4, v4, 1.0                                  // 0000000050F4: D1010004 0001E504
	v_add_f32_e64 v5, v5, 1.0                                  // 0000000050FC: D1010005 0001E505
	v_add_f32_e64 v6, v6, 1.0                                  // 000000005104: D1010006 0001E506
	v_add_f32_e64 v7, v7, 1.0                                  // 00000000510C: D1010007 0001E507
	v_rcp_f32_e32 v4, v4                                       // 000000005114: 7E084504
	v_rcp_f32_e32 v5, v5                                       // 000000005118: 7E0A4505
	v_rcp_f32_e32 v6, v6                                       // 00000000511C: 7E0C4506
	v_rcp_f32_e32 v7, v7                                       // 000000005120: 7E0E4507
	v_mul_f32_e32 v68, v68, v4                                 // 000000005124: 0A880944
	v_mul_f32_e32 v69, v69, v5                                 // 000000005128: 0A8A0B45
	v_mul_f32_e32 v70, v70, v6                                 // 00000000512C: 0A8C0D46
	v_mul_f32_e32 v71, v71, v7                                 // 000000005130: 0A8E0F47
	v_mul_f32_e32 v68, v68, v164                               // 000000005134: 0A894944
	v_mul_f32_e32 v69, v69, v165                               // 000000005138: 0A8B4B45
	v_mul_f32_e32 v70, v70, v166                               // 00000000513C: 0A8D4D46
	v_mul_f32_e32 v71, v71, v167                               // 000000005140: 0A8F4F47
	v_pk_mul_f32 v[4:5], v[72:73], v[72:73]                    // 000000005144: D3B14004 18029148
	v_pk_mul_f32 v[6:7], v[74:75], v[74:75]                    // 00000000514C: D3B14006 1802954A
	v_pk_fma_f32 v[4:5], v[4:5], s[78:79], v[8:9]              // 000000005154: D3B04004 1C209D04
	v_pk_fma_f32 v[6:7], v[6:7], s[78:79], v[8:9]              // 00000000515C: D3B04006 1C209D06
	v_pk_mul_f32 v[4:5], v[4:5], v[72:73]                      // 000000005164: D3B14004 18029104
	v_pk_mul_f32 v[6:7], v[6:7], v[74:75]                      // 00000000516C: D3B14006 18029506
	v_pk_mul_f32 v[4:5], v[4:5], s[60:61]                      // 000000005174: D3B14004 18007904
	v_pk_mul_f32 v[6:7], v[6:7], s[60:61]                      // 00000000517C: D3B14006 18007906
	v_exp_f32_e32 v4, v4                                       // 000000005184: 7E084104
	v_exp_f32_e32 v5, v5                                       // 000000005188: 7E0A4105
	v_exp_f32_e32 v6, v6                                       // 00000000518C: 7E0C4106
	v_exp_f32_e32 v7, v7                                       // 000000005190: 7E0E4107
	v_add_f32_e64 v4, v4, 1.0                                  // 000000005194: D1010004 0001E504
	v_add_f32_e64 v5, v5, 1.0                                  // 00000000519C: D1010005 0001E505
	v_add_f32_e64 v6, v6, 1.0                                  // 0000000051A4: D1010006 0001E506
	v_add_f32_e64 v7, v7, 1.0                                  // 0000000051AC: D1010007 0001E507
	v_rcp_f32_e32 v4, v4                                       // 0000000051B4: 7E084504
	v_rcp_f32_e32 v5, v5                                       // 0000000051B8: 7E0A4505
	v_rcp_f32_e32 v6, v6                                       // 0000000051BC: 7E0C4506
	v_rcp_f32_e32 v7, v7                                       // 0000000051C0: 7E0E4507
	v_mul_f32_e32 v72, v72, v4                                 // 0000000051C4: 0A900948
	v_mul_f32_e32 v73, v73, v5                                 // 0000000051C8: 0A920B49
	v_mul_f32_e32 v74, v74, v6                                 // 0000000051CC: 0A940D4A
	v_mul_f32_e32 v75, v75, v7                                 // 0000000051D0: 0A960F4B
	v_mul_f32_e32 v72, v72, v168                               // 0000000051D4: 0A915148
	v_mul_f32_e32 v73, v73, v169                               // 0000000051D8: 0A935349
	v_mul_f32_e32 v74, v74, v170                               // 0000000051DC: 0A95554A
	v_mul_f32_e32 v75, v75, v171                               // 0000000051E0: 0A97574B
	v_pk_mul_f32 v[4:5], v[76:77], v[76:77]                    // 0000000051E4: D3B14004 1802994C
	v_pk_mul_f32 v[6:7], v[78:79], v[78:79]                    // 0000000051EC: D3B14006 18029D4E
	v_pk_fma_f32 v[4:5], v[4:5], s[78:79], v[8:9]              // 0000000051F4: D3B04004 1C209D04
	v_pk_fma_f32 v[6:7], v[6:7], s[78:79], v[8:9]              // 0000000051FC: D3B04006 1C209D06
	v_pk_mul_f32 v[4:5], v[4:5], v[76:77]                      // 000000005204: D3B14004 18029904
	v_pk_mul_f32 v[6:7], v[6:7], v[78:79]                      // 00000000520C: D3B14006 18029D06
	v_pk_mul_f32 v[4:5], v[4:5], s[60:61]                      // 000000005214: D3B14004 18007904
	v_pk_mul_f32 v[6:7], v[6:7], s[60:61]                      // 00000000521C: D3B14006 18007906
	v_exp_f32_e32 v4, v4                                       // 000000005224: 7E084104
	v_exp_f32_e32 v5, v5                                       // 000000005228: 7E0A4105
	v_exp_f32_e32 v6, v6                                       // 00000000522C: 7E0C4106
	v_exp_f32_e32 v7, v7                                       // 000000005230: 7E0E4107
	v_add_f32_e64 v4, v4, 1.0                                  // 000000005234: D1010004 0001E504
	v_add_f32_e64 v5, v5, 1.0                                  // 00000000523C: D1010005 0001E505
	v_add_f32_e64 v6, v6, 1.0                                  // 000000005244: D1010006 0001E506
	v_add_f32_e64 v7, v7, 1.0                                  // 00000000524C: D1010007 0001E507
	v_rcp_f32_e32 v4, v4                                       // 000000005254: 7E084504
	v_rcp_f32_e32 v5, v5                                       // 000000005258: 7E0A4505
	v_rcp_f32_e32 v6, v6                                       // 00000000525C: 7E0C4506
	v_rcp_f32_e32 v7, v7                                       // 000000005260: 7E0E4507
	v_mul_f32_e32 v76, v76, v4                                 // 000000005264: 0A98094C
	v_mul_f32_e32 v77, v77, v5                                 // 000000005268: 0A9A0B4D
	v_mul_f32_e32 v78, v78, v6                                 // 00000000526C: 0A9C0D4E
	v_mul_f32_e32 v79, v79, v7                                 // 000000005270: 0A9E0F4F
	v_mul_f32_e32 v76, v76, v172                               // 000000005274: 0A99594C
	v_mul_f32_e32 v77, v77, v173                               // 000000005278: 0A9B5B4D
	v_mul_f32_e32 v78, v78, v174                               // 00000000527C: 0A9D5D4E
	v_mul_f32_e32 v79, v79, v175                               // 000000005280: 0A9F5F4F
	v_pk_mul_f32 v[4:5], v[80:81], v[80:81]                    // 000000005284: D3B14004 1802A150
	v_pk_mul_f32 v[6:7], v[82:83], v[82:83]                    // 00000000528C: D3B14006 1802A552
	v_pk_fma_f32 v[4:5], v[4:5], s[78:79], v[8:9]              // 000000005294: D3B04004 1C209D04
	v_pk_fma_f32 v[6:7], v[6:7], s[78:79], v[8:9]              // 00000000529C: D3B04006 1C209D06
	v_pk_mul_f32 v[4:5], v[4:5], v[80:81]                      // 0000000052A4: D3B14004 1802A104
	v_pk_mul_f32 v[6:7], v[6:7], v[82:83]                      // 0000000052AC: D3B14006 1802A506
	v_pk_mul_f32 v[4:5], v[4:5], s[60:61]                      // 0000000052B4: D3B14004 18007904
	v_pk_mul_f32 v[6:7], v[6:7], s[60:61]                      // 0000000052BC: D3B14006 18007906
	v_exp_f32_e32 v4, v4                                       // 0000000052C4: 7E084104
	v_exp_f32_e32 v5, v5                                       // 0000000052C8: 7E0A4105
	v_exp_f32_e32 v6, v6                                       // 0000000052CC: 7E0C4106
	v_exp_f32_e32 v7, v7                                       // 0000000052D0: 7E0E4107
	v_add_f32_e64 v4, v4, 1.0                                  // 0000000052D4: D1010004 0001E504
	v_add_f32_e64 v5, v5, 1.0                                  // 0000000052DC: D1010005 0001E505
	v_add_f32_e64 v6, v6, 1.0                                  // 0000000052E4: D1010006 0001E506
	v_add_f32_e64 v7, v7, 1.0                                  // 0000000052EC: D1010007 0001E507
	v_rcp_f32_e32 v4, v4                                       // 0000000052F4: 7E084504
	v_rcp_f32_e32 v5, v5                                       // 0000000052F8: 7E0A4505
	v_rcp_f32_e32 v6, v6                                       // 0000000052FC: 7E0C4506
	v_rcp_f32_e32 v7, v7                                       // 000000005300: 7E0E4507
	v_mul_f32_e32 v80, v80, v4                                 // 000000005304: 0AA00950
	v_mul_f32_e32 v81, v81, v5                                 // 000000005308: 0AA20B51
	v_mul_f32_e32 v82, v82, v6                                 // 00000000530C: 0AA40D52
	v_mul_f32_e32 v83, v83, v7                                 // 000000005310: 0AA60F53
	v_mul_f32_e32 v80, v80, v176                               // 000000005314: 0AA16150
	v_mul_f32_e32 v81, v81, v177                               // 000000005318: 0AA36351
	v_mul_f32_e32 v82, v82, v178                               // 00000000531C: 0AA56552
	v_mul_f32_e32 v83, v83, v179                               // 000000005320: 0AA76753
	v_pk_mul_f32 v[4:5], v[84:85], v[84:85]                    // 000000005324: D3B14004 1802A954
	v_pk_mul_f32 v[6:7], v[86:87], v[86:87]                    // 00000000532C: D3B14006 1802AD56
	v_pk_fma_f32 v[4:5], v[4:5], s[78:79], v[8:9]              // 000000005334: D3B04004 1C209D04
	v_pk_fma_f32 v[6:7], v[6:7], s[78:79], v[8:9]              // 00000000533C: D3B04006 1C209D06
	v_pk_mul_f32 v[4:5], v[4:5], v[84:85]                      // 000000005344: D3B14004 1802A904
	v_pk_mul_f32 v[6:7], v[6:7], v[86:87]                      // 00000000534C: D3B14006 1802AD06
	v_pk_mul_f32 v[4:5], v[4:5], s[60:61]                      // 000000005354: D3B14004 18007904
	v_pk_mul_f32 v[6:7], v[6:7], s[60:61]                      // 00000000535C: D3B14006 18007906
	v_exp_f32_e32 v4, v4                                       // 000000005364: 7E084104
	v_exp_f32_e32 v5, v5                                       // 000000005368: 7E0A4105
	v_exp_f32_e32 v6, v6                                       // 00000000536C: 7E0C4106
	v_exp_f32_e32 v7, v7                                       // 000000005370: 7E0E4107
	v_add_f32_e64 v4, v4, 1.0                                  // 000000005374: D1010004 0001E504
	v_add_f32_e64 v5, v5, 1.0                                  // 00000000537C: D1010005 0001E505
	v_add_f32_e64 v6, v6, 1.0                                  // 000000005384: D1010006 0001E506
	v_add_f32_e64 v7, v7, 1.0                                  // 00000000538C: D1010007 0001E507
	v_rcp_f32_e32 v4, v4                                       // 000000005394: 7E084504
	v_rcp_f32_e32 v5, v5                                       // 000000005398: 7E0A4505
	v_rcp_f32_e32 v6, v6                                       // 00000000539C: 7E0C4506
	v_rcp_f32_e32 v7, v7                                       // 0000000053A0: 7E0E4507
	v_mul_f32_e32 v84, v84, v4                                 // 0000000053A4: 0AA80954
	v_mul_f32_e32 v85, v85, v5                                 // 0000000053A8: 0AAA0B55
	v_mul_f32_e32 v86, v86, v6                                 // 0000000053AC: 0AAC0D56
	v_mul_f32_e32 v87, v87, v7                                 // 0000000053B0: 0AAE0F57
	v_mul_f32_e32 v84, v84, v180                               // 0000000053B4: 0AA96954
	v_mul_f32_e32 v85, v85, v181                               // 0000000053B8: 0AAB6B55
	v_mul_f32_e32 v86, v86, v182                               // 0000000053BC: 0AAD6D56
	v_mul_f32_e32 v87, v87, v183                               // 0000000053C0: 0AAF6F57
	v_pk_mul_f32 v[4:5], v[88:89], v[88:89]                    // 0000000053C4: D3B14004 1802B158
	v_pk_mul_f32 v[6:7], v[90:91], v[90:91]                    // 0000000053CC: D3B14006 1802B55A
	v_pk_fma_f32 v[4:5], v[4:5], s[78:79], v[8:9]              // 0000000053D4: D3B04004 1C209D04
	v_pk_fma_f32 v[6:7], v[6:7], s[78:79], v[8:9]              // 0000000053DC: D3B04006 1C209D06
	v_pk_mul_f32 v[4:5], v[4:5], v[88:89]                      // 0000000053E4: D3B14004 1802B104
	v_pk_mul_f32 v[6:7], v[6:7], v[90:91]                      // 0000000053EC: D3B14006 1802B506
	v_pk_mul_f32 v[4:5], v[4:5], s[60:61]                      // 0000000053F4: D3B14004 18007904
	v_pk_mul_f32 v[6:7], v[6:7], s[60:61]                      // 0000000053FC: D3B14006 18007906
	v_exp_f32_e32 v4, v4                                       // 000000005404: 7E084104
	v_exp_f32_e32 v5, v5                                       // 000000005408: 7E0A4105
	v_exp_f32_e32 v6, v6                                       // 00000000540C: 7E0C4106
	v_exp_f32_e32 v7, v7                                       // 000000005410: 7E0E4107
	v_add_f32_e64 v4, v4, 1.0                                  // 000000005414: D1010004 0001E504
	v_add_f32_e64 v5, v5, 1.0                                  // 00000000541C: D1010005 0001E505
	v_add_f32_e64 v6, v6, 1.0                                  // 000000005424: D1010006 0001E506
	v_add_f32_e64 v7, v7, 1.0                                  // 00000000542C: D1010007 0001E507
	v_rcp_f32_e32 v4, v4                                       // 000000005434: 7E084504
	v_rcp_f32_e32 v5, v5                                       // 000000005438: 7E0A4505
	v_rcp_f32_e32 v6, v6                                       // 00000000543C: 7E0C4506
	v_rcp_f32_e32 v7, v7                                       // 000000005440: 7E0E4507
	v_mul_f32_e32 v88, v88, v4                                 // 000000005444: 0AB00958
	v_mul_f32_e32 v89, v89, v5                                 // 000000005448: 0AB20B59
	v_mul_f32_e32 v90, v90, v6                                 // 00000000544C: 0AB40D5A
	v_mul_f32_e32 v91, v91, v7                                 // 000000005450: 0AB60F5B
	v_mul_f32_e32 v88, v88, v184                               // 000000005454: 0AB17158
	v_mul_f32_e32 v89, v89, v185                               // 000000005458: 0AB37359
	v_mul_f32_e32 v90, v90, v186                               // 00000000545C: 0AB5755A
	v_mul_f32_e32 v91, v91, v187                               // 000000005460: 0AB7775B
	v_pk_mul_f32 v[4:5], v[92:93], v[92:93]                    // 000000005464: D3B14004 1802B95C
	v_pk_mul_f32 v[6:7], v[94:95], v[94:95]                    // 00000000546C: D3B14006 1802BD5E
	v_pk_fma_f32 v[4:5], v[4:5], s[78:79], v[8:9]              // 000000005474: D3B04004 1C209D04
	v_pk_fma_f32 v[6:7], v[6:7], s[78:79], v[8:9]              // 00000000547C: D3B04006 1C209D06
	v_pk_mul_f32 v[4:5], v[4:5], v[92:93]                      // 000000005484: D3B14004 1802B904
	v_pk_mul_f32 v[6:7], v[6:7], v[94:95]                      // 00000000548C: D3B14006 1802BD06
	v_pk_mul_f32 v[4:5], v[4:5], s[60:61]                      // 000000005494: D3B14004 18007904
	v_pk_mul_f32 v[6:7], v[6:7], s[60:61]                      // 00000000549C: D3B14006 18007906
	v_exp_f32_e32 v4, v4                                       // 0000000054A4: 7E084104
	v_exp_f32_e32 v5, v5                                       // 0000000054A8: 7E0A4105
	v_exp_f32_e32 v6, v6                                       // 0000000054AC: 7E0C4106
	v_exp_f32_e32 v7, v7                                       // 0000000054B0: 7E0E4107
	v_add_f32_e64 v4, v4, 1.0                                  // 0000000054B4: D1010004 0001E504
	v_add_f32_e64 v5, v5, 1.0                                  // 0000000054BC: D1010005 0001E505
	v_add_f32_e64 v6, v6, 1.0                                  // 0000000054C4: D1010006 0001E506
	v_add_f32_e64 v7, v7, 1.0                                  // 0000000054CC: D1010007 0001E507
	v_rcp_f32_e32 v4, v4                                       // 0000000054D4: 7E084504
	v_rcp_f32_e32 v5, v5                                       // 0000000054D8: 7E0A4505
	v_rcp_f32_e32 v6, v6                                       // 0000000054DC: 7E0C4506
	v_rcp_f32_e32 v7, v7                                       // 0000000054E0: 7E0E4507
	v_mul_f32_e32 v92, v92, v4                                 // 0000000054E4: 0AB8095C
	v_mul_f32_e32 v93, v93, v5                                 // 0000000054E8: 0ABA0B5D
	v_mul_f32_e32 v94, v94, v6                                 // 0000000054EC: 0ABC0D5E
	v_mul_f32_e32 v95, v95, v7                                 // 0000000054F0: 0ABE0F5F
	v_mul_f32_e32 v92, v92, v188                               // 0000000054F4: 0AB9795C
	v_mul_f32_e32 v93, v93, v189                               // 0000000054F8: 0ABB7B5D
	v_mul_f32_e32 v94, v94, v190                               // 0000000054FC: 0ABD7D5E
	v_mul_f32_e32 v95, v95, v191                               // 000000005500: 0ABF7F5F
	v_pk_mul_f32 v[4:5], v[96:97], v[96:97]                    // 000000005504: D3B14004 1802C160
	v_pk_mul_f32 v[6:7], v[98:99], v[98:99]                    // 00000000550C: D3B14006 1802C562
	v_pk_fma_f32 v[4:5], v[4:5], s[78:79], v[8:9]              // 000000005514: D3B04004 1C209D04
	v_pk_fma_f32 v[6:7], v[6:7], s[78:79], v[8:9]              // 00000000551C: D3B04006 1C209D06
	v_pk_mul_f32 v[4:5], v[4:5], v[96:97]                      // 000000005524: D3B14004 1802C104
	v_pk_mul_f32 v[6:7], v[6:7], v[98:99]                      // 00000000552C: D3B14006 1802C506
	v_pk_mul_f32 v[4:5], v[4:5], s[60:61]                      // 000000005534: D3B14004 18007904
	v_pk_mul_f32 v[6:7], v[6:7], s[60:61]                      // 00000000553C: D3B14006 18007906
	v_exp_f32_e32 v4, v4                                       // 000000005544: 7E084104
	v_exp_f32_e32 v5, v5                                       // 000000005548: 7E0A4105
	v_exp_f32_e32 v6, v6                                       // 00000000554C: 7E0C4106
	v_exp_f32_e32 v7, v7                                       // 000000005550: 7E0E4107
	v_add_f32_e64 v4, v4, 1.0                                  // 000000005554: D1010004 0001E504
	v_add_f32_e64 v5, v5, 1.0                                  // 00000000555C: D1010005 0001E505
	v_add_f32_e64 v6, v6, 1.0                                  // 000000005564: D1010006 0001E506
	v_add_f32_e64 v7, v7, 1.0                                  // 00000000556C: D1010007 0001E507
	v_rcp_f32_e32 v4, v4                                       // 000000005574: 7E084504
	v_rcp_f32_e32 v5, v5                                       // 000000005578: 7E0A4505
	v_rcp_f32_e32 v6, v6                                       // 00000000557C: 7E0C4506
	v_rcp_f32_e32 v7, v7                                       // 000000005580: 7E0E4507
	v_mul_f32_e32 v96, v96, v4                                 // 000000005584: 0AC00960
	v_mul_f32_e32 v97, v97, v5                                 // 000000005588: 0AC20B61
	v_mul_f32_e32 v98, v98, v6                                 // 00000000558C: 0AC40D62
	v_mul_f32_e32 v99, v99, v7                                 // 000000005590: 0AC60F63
	v_mul_f32_e32 v96, v96, v192                               // 000000005594: 0AC18160
	v_mul_f32_e32 v97, v97, v193                               // 000000005598: 0AC38361
	v_mul_f32_e32 v98, v98, v194                               // 00000000559C: 0AC58562
	v_mul_f32_e32 v99, v99, v195                               // 0000000055A0: 0AC78763
	v_pk_mul_f32 v[4:5], v[100:101], v[100:101]                // 0000000055A4: D3B14004 1802C964
	v_pk_mul_f32 v[6:7], v[102:103], v[102:103]                // 0000000055AC: D3B14006 1802CD66
	v_pk_fma_f32 v[4:5], v[4:5], s[78:79], v[8:9]              // 0000000055B4: D3B04004 1C209D04
	v_pk_fma_f32 v[6:7], v[6:7], s[78:79], v[8:9]              // 0000000055BC: D3B04006 1C209D06
	v_pk_mul_f32 v[4:5], v[4:5], v[100:101]                    // 0000000055C4: D3B14004 1802C904
	v_pk_mul_f32 v[6:7], v[6:7], v[102:103]                    // 0000000055CC: D3B14006 1802CD06
	v_pk_mul_f32 v[4:5], v[4:5], s[60:61]                      // 0000000055D4: D3B14004 18007904
	v_pk_mul_f32 v[6:7], v[6:7], s[60:61]                      // 0000000055DC: D3B14006 18007906
	v_exp_f32_e32 v4, v4                                       // 0000000055E4: 7E084104
	v_exp_f32_e32 v5, v5                                       // 0000000055E8: 7E0A4105
	v_exp_f32_e32 v6, v6                                       // 0000000055EC: 7E0C4106
	v_exp_f32_e32 v7, v7                                       // 0000000055F0: 7E0E4107
	v_add_f32_e64 v4, v4, 1.0                                  // 0000000055F4: D1010004 0001E504
	v_add_f32_e64 v5, v5, 1.0                                  // 0000000055FC: D1010005 0001E505
	v_add_f32_e64 v6, v6, 1.0                                  // 000000005604: D1010006 0001E506
	v_add_f32_e64 v7, v7, 1.0                                  // 00000000560C: D1010007 0001E507
	v_rcp_f32_e32 v4, v4                                       // 000000005614: 7E084504
	v_rcp_f32_e32 v5, v5                                       // 000000005618: 7E0A4505
	v_rcp_f32_e32 v6, v6                                       // 00000000561C: 7E0C4506
	v_rcp_f32_e32 v7, v7                                       // 000000005620: 7E0E4507
	v_mul_f32_e32 v100, v100, v4                               // 000000005624: 0AC80964
	v_mul_f32_e32 v101, v101, v5                               // 000000005628: 0ACA0B65
	v_mul_f32_e32 v102, v102, v6                               // 00000000562C: 0ACC0D66
	v_mul_f32_e32 v103, v103, v7                               // 000000005630: 0ACE0F67
	v_mul_f32_e32 v100, v100, v196                             // 000000005634: 0AC98964
	v_mul_f32_e32 v101, v101, v197                             // 000000005638: 0ACB8B65
	v_mul_f32_e32 v102, v102, v198                             // 00000000563C: 0ACD8D66
	v_mul_f32_e32 v103, v103, v199                             // 000000005640: 0ACF8F67
	v_pk_mul_f32 v[4:5], v[104:105], v[104:105]                // 000000005644: D3B14004 1802D168
	v_pk_mul_f32 v[6:7], v[106:107], v[106:107]                // 00000000564C: D3B14006 1802D56A
	v_pk_fma_f32 v[4:5], v[4:5], s[78:79], v[8:9]              // 000000005654: D3B04004 1C209D04
	v_pk_fma_f32 v[6:7], v[6:7], s[78:79], v[8:9]              // 00000000565C: D3B04006 1C209D06
	v_pk_mul_f32 v[4:5], v[4:5], v[104:105]                    // 000000005664: D3B14004 1802D104
	v_pk_mul_f32 v[6:7], v[6:7], v[106:107]                    // 00000000566C: D3B14006 1802D506
	v_pk_mul_f32 v[4:5], v[4:5], s[60:61]                      // 000000005674: D3B14004 18007904
	v_pk_mul_f32 v[6:7], v[6:7], s[60:61]                      // 00000000567C: D3B14006 18007906
	v_exp_f32_e32 v4, v4                                       // 000000005684: 7E084104
	v_exp_f32_e32 v5, v5                                       // 000000005688: 7E0A4105
	v_exp_f32_e32 v6, v6                                       // 00000000568C: 7E0C4106
	v_exp_f32_e32 v7, v7                                       // 000000005690: 7E0E4107
	v_add_f32_e64 v4, v4, 1.0                                  // 000000005694: D1010004 0001E504
	v_add_f32_e64 v5, v5, 1.0                                  // 00000000569C: D1010005 0001E505
	v_add_f32_e64 v6, v6, 1.0                                  // 0000000056A4: D1010006 0001E506
	v_add_f32_e64 v7, v7, 1.0                                  // 0000000056AC: D1010007 0001E507
	v_rcp_f32_e32 v4, v4                                       // 0000000056B4: 7E084504
	v_rcp_f32_e32 v5, v5                                       // 0000000056B8: 7E0A4505
	v_rcp_f32_e32 v6, v6                                       // 0000000056BC: 7E0C4506
	v_rcp_f32_e32 v7, v7                                       // 0000000056C0: 7E0E4507
	v_mul_f32_e32 v104, v104, v4                               // 0000000056C4: 0AD00968
	v_mul_f32_e32 v105, v105, v5                               // 0000000056C8: 0AD20B69
	v_mul_f32_e32 v106, v106, v6                               // 0000000056CC: 0AD40D6A
	v_mul_f32_e32 v107, v107, v7                               // 0000000056D0: 0AD60F6B
	v_mul_f32_e32 v104, v104, v200                             // 0000000056D4: 0AD19168
	v_mul_f32_e32 v105, v105, v201                             // 0000000056D8: 0AD39369
	v_mul_f32_e32 v106, v106, v202                             // 0000000056DC: 0AD5956A
	v_mul_f32_e32 v107, v107, v203                             // 0000000056E0: 0AD7976B
	v_pk_mul_f32 v[4:5], v[108:109], v[108:109]                // 0000000056E4: D3B14004 1802D96C
	v_pk_mul_f32 v[6:7], v[110:111], v[110:111]                // 0000000056EC: D3B14006 1802DD6E
	v_pk_fma_f32 v[4:5], v[4:5], s[78:79], v[8:9]              // 0000000056F4: D3B04004 1C209D04
	v_pk_fma_f32 v[6:7], v[6:7], s[78:79], v[8:9]              // 0000000056FC: D3B04006 1C209D06
	v_pk_mul_f32 v[4:5], v[4:5], v[108:109]                    // 000000005704: D3B14004 1802D904
	v_pk_mul_f32 v[6:7], v[6:7], v[110:111]                    // 00000000570C: D3B14006 1802DD06
	v_pk_mul_f32 v[4:5], v[4:5], s[60:61]                      // 000000005714: D3B14004 18007904
	v_pk_mul_f32 v[6:7], v[6:7], s[60:61]                      // 00000000571C: D3B14006 18007906
	v_exp_f32_e32 v4, v4                                       // 000000005724: 7E084104
	v_exp_f32_e32 v5, v5                                       // 000000005728: 7E0A4105
	v_exp_f32_e32 v6, v6                                       // 00000000572C: 7E0C4106
	v_exp_f32_e32 v7, v7                                       // 000000005730: 7E0E4107
	v_add_f32_e64 v4, v4, 1.0                                  // 000000005734: D1010004 0001E504
	v_add_f32_e64 v5, v5, 1.0                                  // 00000000573C: D1010005 0001E505
	v_add_f32_e64 v6, v6, 1.0                                  // 000000005744: D1010006 0001E506
	v_add_f32_e64 v7, v7, 1.0                                  // 00000000574C: D1010007 0001E507
	v_rcp_f32_e32 v4, v4                                       // 000000005754: 7E084504
	v_rcp_f32_e32 v5, v5                                       // 000000005758: 7E0A4505
	v_rcp_f32_e32 v6, v6                                       // 00000000575C: 7E0C4506
	v_rcp_f32_e32 v7, v7                                       // 000000005760: 7E0E4507
	v_mul_f32_e32 v108, v108, v4                               // 000000005764: 0AD8096C
	v_mul_f32_e32 v109, v109, v5                               // 000000005768: 0ADA0B6D
	v_mul_f32_e32 v110, v110, v6                               // 00000000576C: 0ADC0D6E
	v_mul_f32_e32 v111, v111, v7                               // 000000005770: 0ADE0F6F
	v_mul_f32_e32 v108, v108, v204                             // 000000005774: 0AD9996C
	v_mul_f32_e32 v109, v109, v205                             // 000000005778: 0ADB9B6D
	v_mul_f32_e32 v110, v110, v206                             // 00000000577C: 0ADD9D6E
	v_mul_f32_e32 v111, v111, v207                             // 000000005780: 0ADF9F6F
	v_pk_mul_f32 v[4:5], v[112:113], v[112:113]                // 000000005784: D3B14004 1802E170
	v_pk_mul_f32 v[6:7], v[114:115], v[114:115]                // 00000000578C: D3B14006 1802E572
	v_pk_fma_f32 v[4:5], v[4:5], s[78:79], v[8:9]              // 000000005794: D3B04004 1C209D04
	v_pk_fma_f32 v[6:7], v[6:7], s[78:79], v[8:9]              // 00000000579C: D3B04006 1C209D06
	v_pk_mul_f32 v[4:5], v[4:5], v[112:113]                    // 0000000057A4: D3B14004 1802E104
	v_pk_mul_f32 v[6:7], v[6:7], v[114:115]                    // 0000000057AC: D3B14006 1802E506
	v_pk_mul_f32 v[4:5], v[4:5], s[60:61]                      // 0000000057B4: D3B14004 18007904
	v_pk_mul_f32 v[6:7], v[6:7], s[60:61]                      // 0000000057BC: D3B14006 18007906
	v_exp_f32_e32 v4, v4                                       // 0000000057C4: 7E084104
	v_exp_f32_e32 v5, v5                                       // 0000000057C8: 7E0A4105
	v_exp_f32_e32 v6, v6                                       // 0000000057CC: 7E0C4106
	v_exp_f32_e32 v7, v7                                       // 0000000057D0: 7E0E4107
	v_add_f32_e64 v4, v4, 1.0                                  // 0000000057D4: D1010004 0001E504
	v_add_f32_e64 v5, v5, 1.0                                  // 0000000057DC: D1010005 0001E505
	v_add_f32_e64 v6, v6, 1.0                                  // 0000000057E4: D1010006 0001E506
	v_add_f32_e64 v7, v7, 1.0                                  // 0000000057EC: D1010007 0001E507
	v_rcp_f32_e32 v4, v4                                       // 0000000057F4: 7E084504
	v_rcp_f32_e32 v5, v5                                       // 0000000057F8: 7E0A4505
	v_rcp_f32_e32 v6, v6                                       // 0000000057FC: 7E0C4506
	v_rcp_f32_e32 v7, v7                                       // 000000005800: 7E0E4507
	v_mul_f32_e32 v112, v112, v4                               // 000000005804: 0AE00970
	v_mul_f32_e32 v113, v113, v5                               // 000000005808: 0AE20B71
	v_mul_f32_e32 v114, v114, v6                               // 00000000580C: 0AE40D72
	v_mul_f32_e32 v115, v115, v7                               // 000000005810: 0AE60F73
	v_mul_f32_e32 v112, v112, v208                             // 000000005814: 0AE1A170
	v_mul_f32_e32 v113, v113, v209                             // 000000005818: 0AE3A371
	v_mul_f32_e32 v114, v114, v210                             // 00000000581C: 0AE5A572
	v_mul_f32_e32 v115, v115, v211                             // 000000005820: 0AE7A773
	v_pk_mul_f32 v[4:5], v[116:117], v[116:117]                // 000000005824: D3B14004 1802E974
	v_pk_mul_f32 v[6:7], v[118:119], v[118:119]                // 00000000582C: D3B14006 1802ED76
	v_pk_fma_f32 v[4:5], v[4:5], s[78:79], v[8:9]              // 000000005834: D3B04004 1C209D04
	v_pk_fma_f32 v[6:7], v[6:7], s[78:79], v[8:9]              // 00000000583C: D3B04006 1C209D06
	v_pk_mul_f32 v[4:5], v[4:5], v[116:117]                    // 000000005844: D3B14004 1802E904
	v_pk_mul_f32 v[6:7], v[6:7], v[118:119]                    // 00000000584C: D3B14006 1802ED06
	v_pk_mul_f32 v[4:5], v[4:5], s[60:61]                      // 000000005854: D3B14004 18007904
	v_pk_mul_f32 v[6:7], v[6:7], s[60:61]                      // 00000000585C: D3B14006 18007906
	v_exp_f32_e32 v4, v4                                       // 000000005864: 7E084104
	v_exp_f32_e32 v5, v5                                       // 000000005868: 7E0A4105
	v_exp_f32_e32 v6, v6                                       // 00000000586C: 7E0C4106
	v_exp_f32_e32 v7, v7                                       // 000000005870: 7E0E4107
	v_add_f32_e64 v4, v4, 1.0                                  // 000000005874: D1010004 0001E504
	v_add_f32_e64 v5, v5, 1.0                                  // 00000000587C: D1010005 0001E505
	v_add_f32_e64 v6, v6, 1.0                                  // 000000005884: D1010006 0001E506
	v_add_f32_e64 v7, v7, 1.0                                  // 00000000588C: D1010007 0001E507
	v_rcp_f32_e32 v4, v4                                       // 000000005894: 7E084504
	v_rcp_f32_e32 v5, v5                                       // 000000005898: 7E0A4505
	v_rcp_f32_e32 v6, v6                                       // 00000000589C: 7E0C4506
	v_rcp_f32_e32 v7, v7                                       // 0000000058A0: 7E0E4507
	v_mul_f32_e32 v116, v116, v4                               // 0000000058A4: 0AE80974
	v_mul_f32_e32 v117, v117, v5                               // 0000000058A8: 0AEA0B75
	v_mul_f32_e32 v118, v118, v6                               // 0000000058AC: 0AEC0D76
	v_mul_f32_e32 v119, v119, v7                               // 0000000058B0: 0AEE0F77
	v_mul_f32_e32 v116, v116, v212                             // 0000000058B4: 0AE9A974
	v_mul_f32_e32 v117, v117, v213                             // 0000000058B8: 0AEBAB75
	v_mul_f32_e32 v118, v118, v214                             // 0000000058BC: 0AEDAD76
	v_mul_f32_e32 v119, v119, v215                             // 0000000058C0: 0AEFAF77
	v_pk_mul_f32 v[4:5], v[120:121], v[120:121]                // 0000000058C4: D3B14004 1802F178
	v_pk_mul_f32 v[6:7], v[122:123], v[122:123]                // 0000000058CC: D3B14006 1802F57A
	v_pk_fma_f32 v[4:5], v[4:5], s[78:79], v[8:9]              // 0000000058D4: D3B04004 1C209D04
	v_pk_fma_f32 v[6:7], v[6:7], s[78:79], v[8:9]              // 0000000058DC: D3B04006 1C209D06
	v_pk_mul_f32 v[4:5], v[4:5], v[120:121]                    // 0000000058E4: D3B14004 1802F104
	v_pk_mul_f32 v[6:7], v[6:7], v[122:123]                    // 0000000058EC: D3B14006 1802F506
	v_pk_mul_f32 v[4:5], v[4:5], s[60:61]                      // 0000000058F4: D3B14004 18007904
	v_pk_mul_f32 v[6:7], v[6:7], s[60:61]                      // 0000000058FC: D3B14006 18007906
	v_exp_f32_e32 v4, v4                                       // 000000005904: 7E084104
	v_exp_f32_e32 v5, v5                                       // 000000005908: 7E0A4105
	v_exp_f32_e32 v6, v6                                       // 00000000590C: 7E0C4106
	v_exp_f32_e32 v7, v7                                       // 000000005910: 7E0E4107
	v_add_f32_e64 v4, v4, 1.0                                  // 000000005914: D1010004 0001E504
	v_add_f32_e64 v5, v5, 1.0                                  // 00000000591C: D1010005 0001E505
	v_add_f32_e64 v6, v6, 1.0                                  // 000000005924: D1010006 0001E506
	v_add_f32_e64 v7, v7, 1.0                                  // 00000000592C: D1010007 0001E507
	v_rcp_f32_e32 v4, v4                                       // 000000005934: 7E084504
	v_rcp_f32_e32 v5, v5                                       // 000000005938: 7E0A4505
	v_rcp_f32_e32 v6, v6                                       // 00000000593C: 7E0C4506
	v_rcp_f32_e32 v7, v7                                       // 000000005940: 7E0E4507
	v_mul_f32_e32 v120, v120, v4                               // 000000005944: 0AF00978
	v_mul_f32_e32 v121, v121, v5                               // 000000005948: 0AF20B79
	v_mul_f32_e32 v122, v122, v6                               // 00000000594C: 0AF40D7A
	v_mul_f32_e32 v123, v123, v7                               // 000000005950: 0AF60F7B
	v_mul_f32_e32 v120, v120, v216                             // 000000005954: 0AF1B178
	v_mul_f32_e32 v121, v121, v217                             // 000000005958: 0AF3B379
	v_mul_f32_e32 v122, v122, v218                             // 00000000595C: 0AF5B57A
	v_mul_f32_e32 v123, v123, v219                             // 000000005960: 0AF7B77B
	v_pk_mul_f32 v[4:5], v[124:125], v[124:125]                // 000000005964: D3B14004 1802F97C
	v_pk_mul_f32 v[6:7], v[126:127], v[126:127]                // 00000000596C: D3B14006 1802FD7E
	v_pk_fma_f32 v[4:5], v[4:5], s[78:79], v[8:9]              // 000000005974: D3B04004 1C209D04
	v_pk_fma_f32 v[6:7], v[6:7], s[78:79], v[8:9]              // 00000000597C: D3B04006 1C209D06
	v_pk_mul_f32 v[4:5], v[4:5], v[124:125]                    // 000000005984: D3B14004 1802F904
	v_pk_mul_f32 v[6:7], v[6:7], v[126:127]                    // 00000000598C: D3B14006 1802FD06
	v_pk_mul_f32 v[4:5], v[4:5], s[60:61]                      // 000000005994: D3B14004 18007904
	v_pk_mul_f32 v[6:7], v[6:7], s[60:61]                      // 00000000599C: D3B14006 18007906
	v_exp_f32_e32 v4, v4                                       // 0000000059A4: 7E084104
	v_exp_f32_e32 v5, v5                                       // 0000000059A8: 7E0A4105
	v_exp_f32_e32 v6, v6                                       // 0000000059AC: 7E0C4106
	v_exp_f32_e32 v7, v7                                       // 0000000059B0: 7E0E4107
	v_add_f32_e64 v4, v4, 1.0                                  // 0000000059B4: D1010004 0001E504
	v_add_f32_e64 v5, v5, 1.0                                  // 0000000059BC: D1010005 0001E505
	v_add_f32_e64 v6, v6, 1.0                                  // 0000000059C4: D1010006 0001E506
	v_add_f32_e64 v7, v7, 1.0                                  // 0000000059CC: D1010007 0001E507
	v_rcp_f32_e32 v4, v4                                       // 0000000059D4: 7E084504
	v_rcp_f32_e32 v5, v5                                       // 0000000059D8: 7E0A4505
	v_rcp_f32_e32 v6, v6                                       // 0000000059DC: 7E0C4506
	v_rcp_f32_e32 v7, v7                                       // 0000000059E0: 7E0E4507
	v_mul_f32_e32 v124, v124, v4                               // 0000000059E4: 0AF8097C
	v_mul_f32_e32 v125, v125, v5                               // 0000000059E8: 0AFA0B7D
	v_mul_f32_e32 v126, v126, v6                               // 0000000059EC: 0AFC0D7E
	v_mul_f32_e32 v127, v127, v7                               // 0000000059F0: 0AFE0F7F
	v_mul_f32_e32 v124, v124, v220                             // 0000000059F4: 0AF9B97C
	v_mul_f32_e32 v125, v125, v221                             // 0000000059F8: 0AFBBB7D
	v_mul_f32_e32 v126, v126, v222                             // 0000000059FC: 0AFDBD7E
	v_mul_f32_e32 v127, v127, v223                             // 000000005A00: 0AFFBF7F
	v_pk_mul_f32 v[4:5], v[128:129], v[128:129]                // 000000005A04: D3B14004 18030180
	v_pk_mul_f32 v[6:7], v[130:131], v[130:131]                // 000000005A0C: D3B14006 18030582
	v_pk_fma_f32 v[4:5], v[4:5], s[78:79], v[8:9]              // 000000005A14: D3B04004 1C209D04
	v_pk_fma_f32 v[6:7], v[6:7], s[78:79], v[8:9]              // 000000005A1C: D3B04006 1C209D06
	v_pk_mul_f32 v[4:5], v[4:5], v[128:129]                    // 000000005A24: D3B14004 18030104
	v_pk_mul_f32 v[6:7], v[6:7], v[130:131]                    // 000000005A2C: D3B14006 18030506
	v_pk_mul_f32 v[4:5], v[4:5], s[60:61]                      // 000000005A34: D3B14004 18007904
	v_pk_mul_f32 v[6:7], v[6:7], s[60:61]                      // 000000005A3C: D3B14006 18007906
	v_exp_f32_e32 v4, v4                                       // 000000005A44: 7E084104
	v_exp_f32_e32 v5, v5                                       // 000000005A48: 7E0A4105
	v_exp_f32_e32 v6, v6                                       // 000000005A4C: 7E0C4106
	v_exp_f32_e32 v7, v7                                       // 000000005A50: 7E0E4107
	v_add_f32_e64 v4, v4, 1.0                                  // 000000005A54: D1010004 0001E504
	v_add_f32_e64 v5, v5, 1.0                                  // 000000005A5C: D1010005 0001E505
	v_add_f32_e64 v6, v6, 1.0                                  // 000000005A64: D1010006 0001E506
	v_add_f32_e64 v7, v7, 1.0                                  // 000000005A6C: D1010007 0001E507
	v_rcp_f32_e32 v4, v4                                       // 000000005A74: 7E084504
	v_rcp_f32_e32 v5, v5                                       // 000000005A78: 7E0A4505
	v_rcp_f32_e32 v6, v6                                       // 000000005A7C: 7E0C4506
	v_rcp_f32_e32 v7, v7                                       // 000000005A80: 7E0E4507
	v_mul_f32_e32 v128, v128, v4                               // 000000005A84: 0B000980
	v_mul_f32_e32 v129, v129, v5                               // 000000005A88: 0B020B81
	v_mul_f32_e32 v130, v130, v6                               // 000000005A8C: 0B040D82
	v_mul_f32_e32 v131, v131, v7                               // 000000005A90: 0B060F83
	v_mul_f32_e32 v128, v128, v224                             // 000000005A94: 0B01C180
	v_mul_f32_e32 v129, v129, v225                             // 000000005A98: 0B03C381
	v_mul_f32_e32 v130, v130, v226                             // 000000005A9C: 0B05C582
	v_mul_f32_e32 v131, v131, v227                             // 000000005AA0: 0B07C783
	v_pk_mul_f32 v[4:5], v[132:133], v[132:133]                // 000000005AA4: D3B14004 18030984
	v_pk_mul_f32 v[6:7], v[134:135], v[134:135]                // 000000005AAC: D3B14006 18030D86
	v_pk_fma_f32 v[4:5], v[4:5], s[78:79], v[8:9]              // 000000005AB4: D3B04004 1C209D04
	v_pk_fma_f32 v[6:7], v[6:7], s[78:79], v[8:9]              // 000000005ABC: D3B04006 1C209D06
	v_pk_mul_f32 v[4:5], v[4:5], v[132:133]                    // 000000005AC4: D3B14004 18030904
	v_pk_mul_f32 v[6:7], v[6:7], v[134:135]                    // 000000005ACC: D3B14006 18030D06
	v_pk_mul_f32 v[4:5], v[4:5], s[60:61]                      // 000000005AD4: D3B14004 18007904
	v_pk_mul_f32 v[6:7], v[6:7], s[60:61]                      // 000000005ADC: D3B14006 18007906
	v_exp_f32_e32 v4, v4                                       // 000000005AE4: 7E084104
	v_exp_f32_e32 v5, v5                                       // 000000005AE8: 7E0A4105
	v_exp_f32_e32 v6, v6                                       // 000000005AEC: 7E0C4106
	v_exp_f32_e32 v7, v7                                       // 000000005AF0: 7E0E4107
	v_add_f32_e64 v4, v4, 1.0                                  // 000000005AF4: D1010004 0001E504
	v_add_f32_e64 v5, v5, 1.0                                  // 000000005AFC: D1010005 0001E505
	v_add_f32_e64 v6, v6, 1.0                                  // 000000005B04: D1010006 0001E506
	v_add_f32_e64 v7, v7, 1.0                                  // 000000005B0C: D1010007 0001E507
	v_rcp_f32_e32 v4, v4                                       // 000000005B14: 7E084504
	v_rcp_f32_e32 v5, v5                                       // 000000005B18: 7E0A4505
	v_rcp_f32_e32 v6, v6                                       // 000000005B1C: 7E0C4506
	v_rcp_f32_e32 v7, v7                                       // 000000005B20: 7E0E4507
	v_mul_f32_e32 v132, v132, v4                               // 000000005B24: 0B080984
	v_mul_f32_e32 v133, v133, v5                               // 000000005B28: 0B0A0B85
	v_mul_f32_e32 v134, v134, v6                               // 000000005B2C: 0B0C0D86
	v_mul_f32_e32 v135, v135, v7                               // 000000005B30: 0B0E0F87
	v_mul_f32_e32 v132, v132, v228                             // 000000005B34: 0B09C984
	v_mul_f32_e32 v133, v133, v229                             // 000000005B38: 0B0BCB85
	v_mul_f32_e32 v134, v134, v230                             // 000000005B3C: 0B0DCD86
	v_mul_f32_e32 v135, v135, v231                             // 000000005B40: 0B0FCF87
	v_pk_mul_f32 v[4:5], v[136:137], v[136:137]                // 000000005B44: D3B14004 18031188
	v_pk_mul_f32 v[6:7], v[138:139], v[138:139]                // 000000005B4C: D3B14006 1803158A
	v_pk_fma_f32 v[4:5], v[4:5], s[78:79], v[8:9]              // 000000005B54: D3B04004 1C209D04
	v_pk_fma_f32 v[6:7], v[6:7], s[78:79], v[8:9]              // 000000005B5C: D3B04006 1C209D06
	v_pk_mul_f32 v[4:5], v[4:5], v[136:137]                    // 000000005B64: D3B14004 18031104
	v_pk_mul_f32 v[6:7], v[6:7], v[138:139]                    // 000000005B6C: D3B14006 18031506
	v_pk_mul_f32 v[4:5], v[4:5], s[60:61]                      // 000000005B74: D3B14004 18007904
	v_pk_mul_f32 v[6:7], v[6:7], s[60:61]                      // 000000005B7C: D3B14006 18007906
	v_exp_f32_e32 v4, v4                                       // 000000005B84: 7E084104
	v_exp_f32_e32 v5, v5                                       // 000000005B88: 7E0A4105
	v_exp_f32_e32 v6, v6                                       // 000000005B8C: 7E0C4106
	v_exp_f32_e32 v7, v7                                       // 000000005B90: 7E0E4107
	v_add_f32_e64 v4, v4, 1.0                                  // 000000005B94: D1010004 0001E504
	v_add_f32_e64 v5, v5, 1.0                                  // 000000005B9C: D1010005 0001E505
	v_add_f32_e64 v6, v6, 1.0                                  // 000000005BA4: D1010006 0001E506
	v_add_f32_e64 v7, v7, 1.0                                  // 000000005BAC: D1010007 0001E507
	v_rcp_f32_e32 v4, v4                                       // 000000005BB4: 7E084504
	v_rcp_f32_e32 v5, v5                                       // 000000005BB8: 7E0A4505
	v_rcp_f32_e32 v6, v6                                       // 000000005BBC: 7E0C4506
	v_rcp_f32_e32 v7, v7                                       // 000000005BC0: 7E0E4507
	v_mul_f32_e32 v136, v136, v4                               // 000000005BC4: 0B100988
	v_mul_f32_e32 v137, v137, v5                               // 000000005BC8: 0B120B89
	v_mul_f32_e32 v138, v138, v6                               // 000000005BCC: 0B140D8A
	v_mul_f32_e32 v139, v139, v7                               // 000000005BD0: 0B160F8B
	v_mul_f32_e32 v136, v136, v232                             // 000000005BD4: 0B11D188
	v_mul_f32_e32 v137, v137, v233                             // 000000005BD8: 0B13D389
	v_mul_f32_e32 v138, v138, v234                             // 000000005BDC: 0B15D58A
	v_mul_f32_e32 v139, v139, v235                             // 000000005BE0: 0B17D78B
	v_pk_mul_f32 v[4:5], v[140:141], v[140:141]                // 000000005BE4: D3B14004 1803198C
	v_pk_mul_f32 v[6:7], v[142:143], v[142:143]                // 000000005BEC: D3B14006 18031D8E
	v_pk_fma_f32 v[4:5], v[4:5], s[78:79], v[8:9]              // 000000005BF4: D3B04004 1C209D04
	v_pk_fma_f32 v[6:7], v[6:7], s[78:79], v[8:9]              // 000000005BFC: D3B04006 1C209D06
	v_pk_mul_f32 v[4:5], v[4:5], v[140:141]                    // 000000005C04: D3B14004 18031904
	v_pk_mul_f32 v[6:7], v[6:7], v[142:143]                    // 000000005C0C: D3B14006 18031D06
	v_pk_mul_f32 v[4:5], v[4:5], s[60:61]                      // 000000005C14: D3B14004 18007904
	v_pk_mul_f32 v[6:7], v[6:7], s[60:61]                      // 000000005C1C: D3B14006 18007906
	v_exp_f32_e32 v4, v4                                       // 000000005C24: 7E084104
	v_exp_f32_e32 v5, v5                                       // 000000005C28: 7E0A4105
	v_exp_f32_e32 v6, v6                                       // 000000005C2C: 7E0C4106
	v_exp_f32_e32 v7, v7                                       // 000000005C30: 7E0E4107
	v_add_f32_e64 v4, v4, 1.0                                  // 000000005C34: D1010004 0001E504
	v_add_f32_e64 v5, v5, 1.0                                  // 000000005C3C: D1010005 0001E505
	v_add_f32_e64 v6, v6, 1.0                                  // 000000005C44: D1010006 0001E506
	v_add_f32_e64 v7, v7, 1.0                                  // 000000005C4C: D1010007 0001E507
	v_rcp_f32_e32 v4, v4                                       // 000000005C54: 7E084504
	v_rcp_f32_e32 v5, v5                                       // 000000005C58: 7E0A4505
	v_rcp_f32_e32 v6, v6                                       // 000000005C5C: 7E0C4506
	v_rcp_f32_e32 v7, v7                                       // 000000005C60: 7E0E4507
	v_mul_f32_e32 v140, v140, v4                               // 000000005C64: 0B18098C
	v_mul_f32_e32 v141, v141, v5                               // 000000005C68: 0B1A0B8D
	v_mul_f32_e32 v142, v142, v6                               // 000000005C6C: 0B1C0D8E
	v_mul_f32_e32 v143, v143, v7                               // 000000005C70: 0B1E0F8F
	v_mul_f32_e32 v140, v140, v236                             // 000000005C74: 0B19D98C
	v_mul_f32_e32 v141, v141, v237                             // 000000005C78: 0B1BDB8D
	v_mul_f32_e32 v142, v142, v238                             // 000000005C7C: 0B1DDD8E
	v_mul_f32_e32 v143, v143, v239                             // 000000005C80: 0B1FDF8F
	v_pk_mul_f32 v[4:5], v[144:145], v[144:145]                // 000000005C84: D3B14004 18032190
	v_pk_mul_f32 v[6:7], v[146:147], v[146:147]                // 000000005C8C: D3B14006 18032592
	v_pk_fma_f32 v[4:5], v[4:5], s[78:79], v[8:9]              // 000000005C94: D3B04004 1C209D04
	v_pk_fma_f32 v[6:7], v[6:7], s[78:79], v[8:9]              // 000000005C9C: D3B04006 1C209D06
	v_pk_mul_f32 v[4:5], v[4:5], v[144:145]                    // 000000005CA4: D3B14004 18032104
	v_pk_mul_f32 v[6:7], v[6:7], v[146:147]                    // 000000005CAC: D3B14006 18032506
	v_pk_mul_f32 v[4:5], v[4:5], s[60:61]                      // 000000005CB4: D3B14004 18007904
	v_pk_mul_f32 v[6:7], v[6:7], s[60:61]                      // 000000005CBC: D3B14006 18007906
	v_exp_f32_e32 v4, v4                                       // 000000005CC4: 7E084104
	v_exp_f32_e32 v5, v5                                       // 000000005CC8: 7E0A4105
	v_exp_f32_e32 v6, v6                                       // 000000005CCC: 7E0C4106
	v_exp_f32_e32 v7, v7                                       // 000000005CD0: 7E0E4107
	v_add_f32_e64 v4, v4, 1.0                                  // 000000005CD4: D1010004 0001E504
	v_add_f32_e64 v5, v5, 1.0                                  // 000000005CDC: D1010005 0001E505
	v_add_f32_e64 v6, v6, 1.0                                  // 000000005CE4: D1010006 0001E506
	v_add_f32_e64 v7, v7, 1.0                                  // 000000005CEC: D1010007 0001E507
	v_rcp_f32_e32 v4, v4                                       // 000000005CF4: 7E084504
	v_rcp_f32_e32 v5, v5                                       // 000000005CF8: 7E0A4505
	v_rcp_f32_e32 v6, v6                                       // 000000005CFC: 7E0C4506
	v_rcp_f32_e32 v7, v7                                       // 000000005D00: 7E0E4507
	v_mul_f32_e32 v144, v144, v4                               // 000000005D04: 0B200990
	v_mul_f32_e32 v145, v145, v5                               // 000000005D08: 0B220B91
	v_mul_f32_e32 v146, v146, v6                               // 000000005D0C: 0B240D92
	v_mul_f32_e32 v147, v147, v7                               // 000000005D10: 0B260F93
	v_mul_f32_e32 v144, v144, v240                             // 000000005D14: 0B21E190
	v_mul_f32_e32 v145, v145, v241                             // 000000005D18: 0B23E391
	v_mul_f32_e32 v146, v146, v242                             // 000000005D1C: 0B25E592
	v_mul_f32_e32 v147, v147, v243                             // 000000005D20: 0B27E793
	v_pk_mul_f32 v[4:5], v[148:149], v[148:149]                // 000000005D24: D3B14004 18032994
	v_pk_mul_f32 v[6:7], v[150:151], v[150:151]                // 000000005D2C: D3B14006 18032D96
	v_pk_fma_f32 v[4:5], v[4:5], s[78:79], v[8:9]              // 000000005D34: D3B04004 1C209D04
	v_pk_fma_f32 v[6:7], v[6:7], s[78:79], v[8:9]              // 000000005D3C: D3B04006 1C209D06
	v_pk_mul_f32 v[4:5], v[4:5], v[148:149]                    // 000000005D44: D3B14004 18032904
	v_pk_mul_f32 v[6:7], v[6:7], v[150:151]                    // 000000005D4C: D3B14006 18032D06
	v_pk_mul_f32 v[4:5], v[4:5], s[60:61]                      // 000000005D54: D3B14004 18007904
	v_pk_mul_f32 v[6:7], v[6:7], s[60:61]                      // 000000005D5C: D3B14006 18007906
	v_exp_f32_e32 v4, v4                                       // 000000005D64: 7E084104
	v_exp_f32_e32 v5, v5                                       // 000000005D68: 7E0A4105
	v_exp_f32_e32 v6, v6                                       // 000000005D6C: 7E0C4106
	v_exp_f32_e32 v7, v7                                       // 000000005D70: 7E0E4107
	v_add_f32_e64 v4, v4, 1.0                                  // 000000005D74: D1010004 0001E504
	v_add_f32_e64 v5, v5, 1.0                                  // 000000005D7C: D1010005 0001E505
	v_add_f32_e64 v6, v6, 1.0                                  // 000000005D84: D1010006 0001E506
	v_add_f32_e64 v7, v7, 1.0                                  // 000000005D8C: D1010007 0001E507
	v_rcp_f32_e32 v4, v4                                       // 000000005D94: 7E084504
	v_rcp_f32_e32 v5, v5                                       // 000000005D98: 7E0A4505
	v_rcp_f32_e32 v6, v6                                       // 000000005D9C: 7E0C4506
	v_rcp_f32_e32 v7, v7                                       // 000000005DA0: 7E0E4507
	v_mul_f32_e32 v148, v148, v4                               // 000000005DA4: 0B280994
	v_mul_f32_e32 v149, v149, v5                               // 000000005DA8: 0B2A0B95
	v_mul_f32_e32 v150, v150, v6                               // 000000005DAC: 0B2C0D96
	v_mul_f32_e32 v151, v151, v7                               // 000000005DB0: 0B2E0F97
	v_mul_f32_e32 v148, v148, v244                             // 000000005DB4: 0B29E994
	v_mul_f32_e32 v149, v149, v245                             // 000000005DB8: 0B2BEB95
	v_mul_f32_e32 v150, v150, v246                             // 000000005DBC: 0B2DED96
	v_mul_f32_e32 v151, v151, v247                             // 000000005DC0: 0B2FEF97
	s_branch label_0FF2                                        // 000000005DC4: BF820300

0000000000005dc8 <label_0CF2>:
	v_mul_f32_e64 v4, -v56, s6                                 // 000000005DC8: D1050004 20000D38
	v_mul_f32_e64 v5, -v57, s6                                 // 000000005DD0: D1050005 20000D39
	v_mul_f32_e64 v6, -v58, s6                                 // 000000005DD8: D1050006 20000D3A
	v_mul_f32_e64 v7, -v59, s6                                 // 000000005DE0: D1050007 20000D3B
	v_exp_f32_e32 v4, v4                                       // 000000005DE8: 7E084104
	v_exp_f32_e32 v5, v5                                       // 000000005DEC: 7E0A4105
	v_exp_f32_e32 v6, v6                                       // 000000005DF0: 7E0C4106
	v_exp_f32_e32 v7, v7                                       // 000000005DF4: 7E0E4107
	v_add_f32_e64 v4, v4, 1.0                                  // 000000005DF8: D1010004 0001E504
	v_add_f32_e64 v5, v5, 1.0                                  // 000000005E00: D1010005 0001E505
	v_add_f32_e64 v6, v6, 1.0                                  // 000000005E08: D1010006 0001E506
	v_add_f32_e64 v7, v7, 1.0                                  // 000000005E10: D1010007 0001E507
	v_rcp_f32_e32 v4, v4                                       // 000000005E18: 7E084504
	v_rcp_f32_e32 v5, v5                                       // 000000005E1C: 7E0A4505
	v_rcp_f32_e32 v6, v6                                       // 000000005E20: 7E0C4506
	v_rcp_f32_e32 v7, v7                                       // 000000005E24: 7E0E4507
	v_mul_f32_e32 v56, v56, v4                                 // 000000005E28: 0A700938
	v_mul_f32_e32 v57, v57, v5                                 // 000000005E2C: 0A720B39
	v_mul_f32_e32 v58, v58, v6                                 // 000000005E30: 0A740D3A
	v_mul_f32_e32 v59, v59, v7                                 // 000000005E34: 0A760F3B
	v_mul_f32_e32 v56, v56, v152                               // 000000005E38: 0A713138
	v_mul_f32_e32 v57, v57, v153                               // 000000005E3C: 0A733339
	v_mul_f32_e32 v58, v58, v154                               // 000000005E40: 0A75353A
	v_mul_f32_e32 v59, v59, v155                               // 000000005E44: 0A77373B
	v_mul_f32_e64 v4, -v60, s6                                 // 000000005E48: D1050004 20000D3C
	v_mul_f32_e64 v5, -v61, s6                                 // 000000005E50: D1050005 20000D3D
	v_mul_f32_e64 v6, -v62, s6                                 // 000000005E58: D1050006 20000D3E
	v_mul_f32_e64 v7, -v63, s6                                 // 000000005E60: D1050007 20000D3F
	v_exp_f32_e32 v4, v4                                       // 000000005E68: 7E084104
	v_exp_f32_e32 v5, v5                                       // 000000005E6C: 7E0A4105
	v_exp_f32_e32 v6, v6                                       // 000000005E70: 7E0C4106
	v_exp_f32_e32 v7, v7                                       // 000000005E74: 7E0E4107
	v_add_f32_e64 v4, v4, 1.0                                  // 000000005E78: D1010004 0001E504
	v_add_f32_e64 v5, v5, 1.0                                  // 000000005E80: D1010005 0001E505
	v_add_f32_e64 v6, v6, 1.0                                  // 000000005E88: D1010006 0001E506
	v_add_f32_e64 v7, v7, 1.0                                  // 000000005E90: D1010007 0001E507
	v_rcp_f32_e32 v4, v4                                       // 000000005E98: 7E084504
	v_rcp_f32_e32 v5, v5                                       // 000000005E9C: 7E0A4505
	v_rcp_f32_e32 v6, v6                                       // 000000005EA0: 7E0C4506
	v_rcp_f32_e32 v7, v7                                       // 000000005EA4: 7E0E4507
	v_mul_f32_e32 v60, v60, v4                                 // 000000005EA8: 0A78093C
	v_mul_f32_e32 v61, v61, v5                                 // 000000005EAC: 0A7A0B3D
	v_mul_f32_e32 v62, v62, v6                                 // 000000005EB0: 0A7C0D3E
	v_mul_f32_e32 v63, v63, v7                                 // 000000005EB4: 0A7E0F3F
	v_mul_f32_e32 v60, v60, v156                               // 000000005EB8: 0A79393C
	v_mul_f32_e32 v61, v61, v157                               // 000000005EBC: 0A7B3B3D
	v_mul_f32_e32 v62, v62, v158                               // 000000005EC0: 0A7D3D3E
	v_mul_f32_e32 v63, v63, v159                               // 000000005EC4: 0A7F3F3F
	v_mul_f32_e64 v4, -v64, s6                                 // 000000005EC8: D1050004 20000D40
	v_mul_f32_e64 v5, -v65, s6                                 // 000000005ED0: D1050005 20000D41
	v_mul_f32_e64 v6, -v66, s6                                 // 000000005ED8: D1050006 20000D42
	v_mul_f32_e64 v7, -v67, s6                                 // 000000005EE0: D1050007 20000D43
	v_exp_f32_e32 v4, v4                                       // 000000005EE8: 7E084104
	v_exp_f32_e32 v5, v5                                       // 000000005EEC: 7E0A4105
	v_exp_f32_e32 v6, v6                                       // 000000005EF0: 7E0C4106
	v_exp_f32_e32 v7, v7                                       // 000000005EF4: 7E0E4107
	v_add_f32_e64 v4, v4, 1.0                                  // 000000005EF8: D1010004 0001E504
	v_add_f32_e64 v5, v5, 1.0                                  // 000000005F00: D1010005 0001E505
	v_add_f32_e64 v6, v6, 1.0                                  // 000000005F08: D1010006 0001E506
	v_add_f32_e64 v7, v7, 1.0                                  // 000000005F10: D1010007 0001E507
	v_rcp_f32_e32 v4, v4                                       // 000000005F18: 7E084504
	v_rcp_f32_e32 v5, v5                                       // 000000005F1C: 7E0A4505
	v_rcp_f32_e32 v6, v6                                       // 000000005F20: 7E0C4506
	v_rcp_f32_e32 v7, v7                                       // 000000005F24: 7E0E4507
	v_mul_f32_e32 v64, v64, v4                                 // 000000005F28: 0A800940
	v_mul_f32_e32 v65, v65, v5                                 // 000000005F2C: 0A820B41
	v_mul_f32_e32 v66, v66, v6                                 // 000000005F30: 0A840D42
	v_mul_f32_e32 v67, v67, v7                                 // 000000005F34: 0A860F43
	v_mul_f32_e32 v64, v64, v160                               // 000000005F38: 0A814140
	v_mul_f32_e32 v65, v65, v161                               // 000000005F3C: 0A834341
	v_mul_f32_e32 v66, v66, v162                               // 000000005F40: 0A854542
	v_mul_f32_e32 v67, v67, v163                               // 000000005F44: 0A874743
	v_mul_f32_e64 v4, -v68, s6                                 // 000000005F48: D1050004 20000D44
	v_mul_f32_e64 v5, -v69, s6                                 // 000000005F50: D1050005 20000D45
	v_mul_f32_e64 v6, -v70, s6                                 // 000000005F58: D1050006 20000D46
	v_mul_f32_e64 v7, -v71, s6                                 // 000000005F60: D1050007 20000D47
	v_exp_f32_e32 v4, v4                                       // 000000005F68: 7E084104
	v_exp_f32_e32 v5, v5                                       // 000000005F6C: 7E0A4105
	v_exp_f32_e32 v6, v6                                       // 000000005F70: 7E0C4106
	v_exp_f32_e32 v7, v7                                       // 000000005F74: 7E0E4107
	v_add_f32_e64 v4, v4, 1.0                                  // 000000005F78: D1010004 0001E504
	v_add_f32_e64 v5, v5, 1.0                                  // 000000005F80: D1010005 0001E505
	v_add_f32_e64 v6, v6, 1.0                                  // 000000005F88: D1010006 0001E506
	v_add_f32_e64 v7, v7, 1.0                                  // 000000005F90: D1010007 0001E507
	v_rcp_f32_e32 v4, v4                                       // 000000005F98: 7E084504
	v_rcp_f32_e32 v5, v5                                       // 000000005F9C: 7E0A4505
	v_rcp_f32_e32 v6, v6                                       // 000000005FA0: 7E0C4506
	v_rcp_f32_e32 v7, v7                                       // 000000005FA4: 7E0E4507
	v_mul_f32_e32 v68, v68, v4                                 // 000000005FA8: 0A880944
	v_mul_f32_e32 v69, v69, v5                                 // 000000005FAC: 0A8A0B45
	v_mul_f32_e32 v70, v70, v6                                 // 000000005FB0: 0A8C0D46
	v_mul_f32_e32 v71, v71, v7                                 // 000000005FB4: 0A8E0F47
	v_mul_f32_e32 v68, v68, v164                               // 000000005FB8: 0A894944
	v_mul_f32_e32 v69, v69, v165                               // 000000005FBC: 0A8B4B45
	v_mul_f32_e32 v70, v70, v166                               // 000000005FC0: 0A8D4D46
	v_mul_f32_e32 v71, v71, v167                               // 000000005FC4: 0A8F4F47
	v_mul_f32_e64 v4, -v72, s6                                 // 000000005FC8: D1050004 20000D48
	v_mul_f32_e64 v5, -v73, s6                                 // 000000005FD0: D1050005 20000D49
	v_mul_f32_e64 v6, -v74, s6                                 // 000000005FD8: D1050006 20000D4A
	v_mul_f32_e64 v7, -v75, s6                                 // 000000005FE0: D1050007 20000D4B
	v_exp_f32_e32 v4, v4                                       // 000000005FE8: 7E084104
	v_exp_f32_e32 v5, v5                                       // 000000005FEC: 7E0A4105
	v_exp_f32_e32 v6, v6                                       // 000000005FF0: 7E0C4106
	v_exp_f32_e32 v7, v7                                       // 000000005FF4: 7E0E4107
	v_add_f32_e64 v4, v4, 1.0                                  // 000000005FF8: D1010004 0001E504
	v_add_f32_e64 v5, v5, 1.0                                  // 000000006000: D1010005 0001E505
	v_add_f32_e64 v6, v6, 1.0                                  // 000000006008: D1010006 0001E506
	v_add_f32_e64 v7, v7, 1.0                                  // 000000006010: D1010007 0001E507
	v_rcp_f32_e32 v4, v4                                       // 000000006018: 7E084504
	v_rcp_f32_e32 v5, v5                                       // 00000000601C: 7E0A4505
	v_rcp_f32_e32 v6, v6                                       // 000000006020: 7E0C4506
	v_rcp_f32_e32 v7, v7                                       // 000000006024: 7E0E4507
	v_mul_f32_e32 v72, v72, v4                                 // 000000006028: 0A900948
	v_mul_f32_e32 v73, v73, v5                                 // 00000000602C: 0A920B49
	v_mul_f32_e32 v74, v74, v6                                 // 000000006030: 0A940D4A
	v_mul_f32_e32 v75, v75, v7                                 // 000000006034: 0A960F4B
	v_mul_f32_e32 v72, v72, v168                               // 000000006038: 0A915148
	v_mul_f32_e32 v73, v73, v169                               // 00000000603C: 0A935349
	v_mul_f32_e32 v74, v74, v170                               // 000000006040: 0A95554A
	v_mul_f32_e32 v75, v75, v171                               // 000000006044: 0A97574B
	v_mul_f32_e64 v4, -v76, s6                                 // 000000006048: D1050004 20000D4C
	v_mul_f32_e64 v5, -v77, s6                                 // 000000006050: D1050005 20000D4D
	v_mul_f32_e64 v6, -v78, s6                                 // 000000006058: D1050006 20000D4E
	v_mul_f32_e64 v7, -v79, s6                                 // 000000006060: D1050007 20000D4F
	v_exp_f32_e32 v4, v4                                       // 000000006068: 7E084104
	v_exp_f32_e32 v5, v5                                       // 00000000606C: 7E0A4105
	v_exp_f32_e32 v6, v6                                       // 000000006070: 7E0C4106
	v_exp_f32_e32 v7, v7                                       // 000000006074: 7E0E4107
	v_add_f32_e64 v4, v4, 1.0                                  // 000000006078: D1010004 0001E504
	v_add_f32_e64 v5, v5, 1.0                                  // 000000006080: D1010005 0001E505
	v_add_f32_e64 v6, v6, 1.0                                  // 000000006088: D1010006 0001E506
	v_add_f32_e64 v7, v7, 1.0                                  // 000000006090: D1010007 0001E507
	v_rcp_f32_e32 v4, v4                                       // 000000006098: 7E084504
	v_rcp_f32_e32 v5, v5                                       // 00000000609C: 7E0A4505
	v_rcp_f32_e32 v6, v6                                       // 0000000060A0: 7E0C4506
	v_rcp_f32_e32 v7, v7                                       // 0000000060A4: 7E0E4507
	v_mul_f32_e32 v76, v76, v4                                 // 0000000060A8: 0A98094C
	v_mul_f32_e32 v77, v77, v5                                 // 0000000060AC: 0A9A0B4D
	v_mul_f32_e32 v78, v78, v6                                 // 0000000060B0: 0A9C0D4E
	v_mul_f32_e32 v79, v79, v7                                 // 0000000060B4: 0A9E0F4F
	v_mul_f32_e32 v76, v76, v172                               // 0000000060B8: 0A99594C
	v_mul_f32_e32 v77, v77, v173                               // 0000000060BC: 0A9B5B4D
	v_mul_f32_e32 v78, v78, v174                               // 0000000060C0: 0A9D5D4E
	v_mul_f32_e32 v79, v79, v175                               // 0000000060C4: 0A9F5F4F
	v_mul_f32_e64 v4, -v80, s6                                 // 0000000060C8: D1050004 20000D50
	v_mul_f32_e64 v5, -v81, s6                                 // 0000000060D0: D1050005 20000D51
	v_mul_f32_e64 v6, -v82, s6                                 // 0000000060D8: D1050006 20000D52
	v_mul_f32_e64 v7, -v83, s6                                 // 0000000060E0: D1050007 20000D53
	v_exp_f32_e32 v4, v4                                       // 0000000060E8: 7E084104
	v_exp_f32_e32 v5, v5                                       // 0000000060EC: 7E0A4105
	v_exp_f32_e32 v6, v6                                       // 0000000060F0: 7E0C4106
	v_exp_f32_e32 v7, v7                                       // 0000000060F4: 7E0E4107
	v_add_f32_e64 v4, v4, 1.0                                  // 0000000060F8: D1010004 0001E504
	v_add_f32_e64 v5, v5, 1.0                                  // 000000006100: D1010005 0001E505
	v_add_f32_e64 v6, v6, 1.0                                  // 000000006108: D1010006 0001E506
	v_add_f32_e64 v7, v7, 1.0                                  // 000000006110: D1010007 0001E507
	v_rcp_f32_e32 v4, v4                                       // 000000006118: 7E084504
	v_rcp_f32_e32 v5, v5                                       // 00000000611C: 7E0A4505
	v_rcp_f32_e32 v6, v6                                       // 000000006120: 7E0C4506
	v_rcp_f32_e32 v7, v7                                       // 000000006124: 7E0E4507
	v_mul_f32_e32 v80, v80, v4                                 // 000000006128: 0AA00950
	v_mul_f32_e32 v81, v81, v5                                 // 00000000612C: 0AA20B51
	v_mul_f32_e32 v82, v82, v6                                 // 000000006130: 0AA40D52
	v_mul_f32_e32 v83, v83, v7                                 // 000000006134: 0AA60F53
	v_mul_f32_e32 v80, v80, v176                               // 000000006138: 0AA16150
	v_mul_f32_e32 v81, v81, v177                               // 00000000613C: 0AA36351
	v_mul_f32_e32 v82, v82, v178                               // 000000006140: 0AA56552
	v_mul_f32_e32 v83, v83, v179                               // 000000006144: 0AA76753
	v_mul_f32_e64 v4, -v84, s6                                 // 000000006148: D1050004 20000D54
	v_mul_f32_e64 v5, -v85, s6                                 // 000000006150: D1050005 20000D55
	v_mul_f32_e64 v6, -v86, s6                                 // 000000006158: D1050006 20000D56
	v_mul_f32_e64 v7, -v87, s6                                 // 000000006160: D1050007 20000D57
	v_exp_f32_e32 v4, v4                                       // 000000006168: 7E084104
	v_exp_f32_e32 v5, v5                                       // 00000000616C: 7E0A4105
	v_exp_f32_e32 v6, v6                                       // 000000006170: 7E0C4106
	v_exp_f32_e32 v7, v7                                       // 000000006174: 7E0E4107
	v_add_f32_e64 v4, v4, 1.0                                  // 000000006178: D1010004 0001E504
	v_add_f32_e64 v5, v5, 1.0                                  // 000000006180: D1010005 0001E505
	v_add_f32_e64 v6, v6, 1.0                                  // 000000006188: D1010006 0001E506
	v_add_f32_e64 v7, v7, 1.0                                  // 000000006190: D1010007 0001E507
	v_rcp_f32_e32 v4, v4                                       // 000000006198: 7E084504
	v_rcp_f32_e32 v5, v5                                       // 00000000619C: 7E0A4505
	v_rcp_f32_e32 v6, v6                                       // 0000000061A0: 7E0C4506
	v_rcp_f32_e32 v7, v7                                       // 0000000061A4: 7E0E4507
	v_mul_f32_e32 v84, v84, v4                                 // 0000000061A8: 0AA80954
	v_mul_f32_e32 v85, v85, v5                                 // 0000000061AC: 0AAA0B55
	v_mul_f32_e32 v86, v86, v6                                 // 0000000061B0: 0AAC0D56
	v_mul_f32_e32 v87, v87, v7                                 // 0000000061B4: 0AAE0F57
	v_mul_f32_e32 v84, v84, v180                               // 0000000061B8: 0AA96954
	v_mul_f32_e32 v85, v85, v181                               // 0000000061BC: 0AAB6B55
	v_mul_f32_e32 v86, v86, v182                               // 0000000061C0: 0AAD6D56
	v_mul_f32_e32 v87, v87, v183                               // 0000000061C4: 0AAF6F57
	v_mul_f32_e64 v4, -v88, s6                                 // 0000000061C8: D1050004 20000D58
	v_mul_f32_e64 v5, -v89, s6                                 // 0000000061D0: D1050005 20000D59
	v_mul_f32_e64 v6, -v90, s6                                 // 0000000061D8: D1050006 20000D5A
	v_mul_f32_e64 v7, -v91, s6                                 // 0000000061E0: D1050007 20000D5B
	v_exp_f32_e32 v4, v4                                       // 0000000061E8: 7E084104
	v_exp_f32_e32 v5, v5                                       // 0000000061EC: 7E0A4105
	v_exp_f32_e32 v6, v6                                       // 0000000061F0: 7E0C4106
	v_exp_f32_e32 v7, v7                                       // 0000000061F4: 7E0E4107
	v_add_f32_e64 v4, v4, 1.0                                  // 0000000061F8: D1010004 0001E504
	v_add_f32_e64 v5, v5, 1.0                                  // 000000006200: D1010005 0001E505
	v_add_f32_e64 v6, v6, 1.0                                  // 000000006208: D1010006 0001E506
	v_add_f32_e64 v7, v7, 1.0                                  // 000000006210: D1010007 0001E507
	v_rcp_f32_e32 v4, v4                                       // 000000006218: 7E084504
	v_rcp_f32_e32 v5, v5                                       // 00000000621C: 7E0A4505
	v_rcp_f32_e32 v6, v6                                       // 000000006220: 7E0C4506
	v_rcp_f32_e32 v7, v7                                       // 000000006224: 7E0E4507
	v_mul_f32_e32 v88, v88, v4                                 // 000000006228: 0AB00958
	v_mul_f32_e32 v89, v89, v5                                 // 00000000622C: 0AB20B59
	v_mul_f32_e32 v90, v90, v6                                 // 000000006230: 0AB40D5A
	v_mul_f32_e32 v91, v91, v7                                 // 000000006234: 0AB60F5B
	v_mul_f32_e32 v88, v88, v184                               // 000000006238: 0AB17158
	v_mul_f32_e32 v89, v89, v185                               // 00000000623C: 0AB37359
	v_mul_f32_e32 v90, v90, v186                               // 000000006240: 0AB5755A
	v_mul_f32_e32 v91, v91, v187                               // 000000006244: 0AB7775B
	v_mul_f32_e64 v4, -v92, s6                                 // 000000006248: D1050004 20000D5C
	v_mul_f32_e64 v5, -v93, s6                                 // 000000006250: D1050005 20000D5D
	v_mul_f32_e64 v6, -v94, s6                                 // 000000006258: D1050006 20000D5E
	v_mul_f32_e64 v7, -v95, s6                                 // 000000006260: D1050007 20000D5F
	v_exp_f32_e32 v4, v4                                       // 000000006268: 7E084104
	v_exp_f32_e32 v5, v5                                       // 00000000626C: 7E0A4105
	v_exp_f32_e32 v6, v6                                       // 000000006270: 7E0C4106
	v_exp_f32_e32 v7, v7                                       // 000000006274: 7E0E4107
	v_add_f32_e64 v4, v4, 1.0                                  // 000000006278: D1010004 0001E504
	v_add_f32_e64 v5, v5, 1.0                                  // 000000006280: D1010005 0001E505
	v_add_f32_e64 v6, v6, 1.0                                  // 000000006288: D1010006 0001E506
	v_add_f32_e64 v7, v7, 1.0                                  // 000000006290: D1010007 0001E507
	v_rcp_f32_e32 v4, v4                                       // 000000006298: 7E084504
	v_rcp_f32_e32 v5, v5                                       // 00000000629C: 7E0A4505
	v_rcp_f32_e32 v6, v6                                       // 0000000062A0: 7E0C4506
	v_rcp_f32_e32 v7, v7                                       // 0000000062A4: 7E0E4507
	v_mul_f32_e32 v92, v92, v4                                 // 0000000062A8: 0AB8095C
	v_mul_f32_e32 v93, v93, v5                                 // 0000000062AC: 0ABA0B5D
	v_mul_f32_e32 v94, v94, v6                                 // 0000000062B0: 0ABC0D5E
	v_mul_f32_e32 v95, v95, v7                                 // 0000000062B4: 0ABE0F5F
	v_mul_f32_e32 v92, v92, v188                               // 0000000062B8: 0AB9795C
	v_mul_f32_e32 v93, v93, v189                               // 0000000062BC: 0ABB7B5D
	v_mul_f32_e32 v94, v94, v190                               // 0000000062C0: 0ABD7D5E
	v_mul_f32_e32 v95, v95, v191                               // 0000000062C4: 0ABF7F5F
	v_mul_f32_e64 v4, -v96, s6                                 // 0000000062C8: D1050004 20000D60
	v_mul_f32_e64 v5, -v97, s6                                 // 0000000062D0: D1050005 20000D61
	v_mul_f32_e64 v6, -v98, s6                                 // 0000000062D8: D1050006 20000D62
	v_mul_f32_e64 v7, -v99, s6                                 // 0000000062E0: D1050007 20000D63
	v_exp_f32_e32 v4, v4                                       // 0000000062E8: 7E084104
	v_exp_f32_e32 v5, v5                                       // 0000000062EC: 7E0A4105
	v_exp_f32_e32 v6, v6                                       // 0000000062F0: 7E0C4106
	v_exp_f32_e32 v7, v7                                       // 0000000062F4: 7E0E4107
	v_add_f32_e64 v4, v4, 1.0                                  // 0000000062F8: D1010004 0001E504
	v_add_f32_e64 v5, v5, 1.0                                  // 000000006300: D1010005 0001E505
	v_add_f32_e64 v6, v6, 1.0                                  // 000000006308: D1010006 0001E506
	v_add_f32_e64 v7, v7, 1.0                                  // 000000006310: D1010007 0001E507
	v_rcp_f32_e32 v4, v4                                       // 000000006318: 7E084504
	v_rcp_f32_e32 v5, v5                                       // 00000000631C: 7E0A4505
	v_rcp_f32_e32 v6, v6                                       // 000000006320: 7E0C4506
	v_rcp_f32_e32 v7, v7                                       // 000000006324: 7E0E4507
	v_mul_f32_e32 v96, v96, v4                                 // 000000006328: 0AC00960
	v_mul_f32_e32 v97, v97, v5                                 // 00000000632C: 0AC20B61
	v_mul_f32_e32 v98, v98, v6                                 // 000000006330: 0AC40D62
	v_mul_f32_e32 v99, v99, v7                                 // 000000006334: 0AC60F63
	v_mul_f32_e32 v96, v96, v192                               // 000000006338: 0AC18160
	v_mul_f32_e32 v97, v97, v193                               // 00000000633C: 0AC38361
	v_mul_f32_e32 v98, v98, v194                               // 000000006340: 0AC58562
	v_mul_f32_e32 v99, v99, v195                               // 000000006344: 0AC78763
	v_mul_f32_e64 v4, -v100, s6                                // 000000006348: D1050004 20000D64
	v_mul_f32_e64 v5, -v101, s6                                // 000000006350: D1050005 20000D65
	v_mul_f32_e64 v6, -v102, s6                                // 000000006358: D1050006 20000D66
	v_mul_f32_e64 v7, -v103, s6                                // 000000006360: D1050007 20000D67
	v_exp_f32_e32 v4, v4                                       // 000000006368: 7E084104
	v_exp_f32_e32 v5, v5                                       // 00000000636C: 7E0A4105
	v_exp_f32_e32 v6, v6                                       // 000000006370: 7E0C4106
	v_exp_f32_e32 v7, v7                                       // 000000006374: 7E0E4107
	v_add_f32_e64 v4, v4, 1.0                                  // 000000006378: D1010004 0001E504
	v_add_f32_e64 v5, v5, 1.0                                  // 000000006380: D1010005 0001E505
	v_add_f32_e64 v6, v6, 1.0                                  // 000000006388: D1010006 0001E506
	v_add_f32_e64 v7, v7, 1.0                                  // 000000006390: D1010007 0001E507
	v_rcp_f32_e32 v4, v4                                       // 000000006398: 7E084504
	v_rcp_f32_e32 v5, v5                                       // 00000000639C: 7E0A4505
	v_rcp_f32_e32 v6, v6                                       // 0000000063A0: 7E0C4506
	v_rcp_f32_e32 v7, v7                                       // 0000000063A4: 7E0E4507
	v_mul_f32_e32 v100, v100, v4                               // 0000000063A8: 0AC80964
	v_mul_f32_e32 v101, v101, v5                               // 0000000063AC: 0ACA0B65
	v_mul_f32_e32 v102, v102, v6                               // 0000000063B0: 0ACC0D66
	v_mul_f32_e32 v103, v103, v7                               // 0000000063B4: 0ACE0F67
	v_mul_f32_e32 v100, v100, v196                             // 0000000063B8: 0AC98964
	v_mul_f32_e32 v101, v101, v197                             // 0000000063BC: 0ACB8B65
	v_mul_f32_e32 v102, v102, v198                             // 0000000063C0: 0ACD8D66
	v_mul_f32_e32 v103, v103, v199                             // 0000000063C4: 0ACF8F67
	v_mul_f32_e64 v4, -v104, s6                                // 0000000063C8: D1050004 20000D68
	v_mul_f32_e64 v5, -v105, s6                                // 0000000063D0: D1050005 20000D69
	v_mul_f32_e64 v6, -v106, s6                                // 0000000063D8: D1050006 20000D6A
	v_mul_f32_e64 v7, -v107, s6                                // 0000000063E0: D1050007 20000D6B
	v_exp_f32_e32 v4, v4                                       // 0000000063E8: 7E084104
	v_exp_f32_e32 v5, v5                                       // 0000000063EC: 7E0A4105
	v_exp_f32_e32 v6, v6                                       // 0000000063F0: 7E0C4106
	v_exp_f32_e32 v7, v7                                       // 0000000063F4: 7E0E4107
	v_add_f32_e64 v4, v4, 1.0                                  // 0000000063F8: D1010004 0001E504
	v_add_f32_e64 v5, v5, 1.0                                  // 000000006400: D1010005 0001E505
	v_add_f32_e64 v6, v6, 1.0                                  // 000000006408: D1010006 0001E506
	v_add_f32_e64 v7, v7, 1.0                                  // 000000006410: D1010007 0001E507
	v_rcp_f32_e32 v4, v4                                       // 000000006418: 7E084504
	v_rcp_f32_e32 v5, v5                                       // 00000000641C: 7E0A4505
	v_rcp_f32_e32 v6, v6                                       // 000000006420: 7E0C4506
	v_rcp_f32_e32 v7, v7                                       // 000000006424: 7E0E4507
	v_mul_f32_e32 v104, v104, v4                               // 000000006428: 0AD00968
	v_mul_f32_e32 v105, v105, v5                               // 00000000642C: 0AD20B69
	v_mul_f32_e32 v106, v106, v6                               // 000000006430: 0AD40D6A
	v_mul_f32_e32 v107, v107, v7                               // 000000006434: 0AD60F6B
	v_mul_f32_e32 v104, v104, v200                             // 000000006438: 0AD19168
	v_mul_f32_e32 v105, v105, v201                             // 00000000643C: 0AD39369
	v_mul_f32_e32 v106, v106, v202                             // 000000006440: 0AD5956A
	v_mul_f32_e32 v107, v107, v203                             // 000000006444: 0AD7976B
	v_mul_f32_e64 v4, -v108, s6                                // 000000006448: D1050004 20000D6C
	v_mul_f32_e64 v5, -v109, s6                                // 000000006450: D1050005 20000D6D
	v_mul_f32_e64 v6, -v110, s6                                // 000000006458: D1050006 20000D6E
	v_mul_f32_e64 v7, -v111, s6                                // 000000006460: D1050007 20000D6F
	v_exp_f32_e32 v4, v4                                       // 000000006468: 7E084104
	v_exp_f32_e32 v5, v5                                       // 00000000646C: 7E0A4105
	v_exp_f32_e32 v6, v6                                       // 000000006470: 7E0C4106
	v_exp_f32_e32 v7, v7                                       // 000000006474: 7E0E4107
	v_add_f32_e64 v4, v4, 1.0                                  // 000000006478: D1010004 0001E504
	v_add_f32_e64 v5, v5, 1.0                                  // 000000006480: D1010005 0001E505
	v_add_f32_e64 v6, v6, 1.0                                  // 000000006488: D1010006 0001E506
	v_add_f32_e64 v7, v7, 1.0                                  // 000000006490: D1010007 0001E507
	v_rcp_f32_e32 v4, v4                                       // 000000006498: 7E084504
	v_rcp_f32_e32 v5, v5                                       // 00000000649C: 7E0A4505
	v_rcp_f32_e32 v6, v6                                       // 0000000064A0: 7E0C4506
	v_rcp_f32_e32 v7, v7                                       // 0000000064A4: 7E0E4507
	v_mul_f32_e32 v108, v108, v4                               // 0000000064A8: 0AD8096C
	v_mul_f32_e32 v109, v109, v5                               // 0000000064AC: 0ADA0B6D
	v_mul_f32_e32 v110, v110, v6                               // 0000000064B0: 0ADC0D6E
	v_mul_f32_e32 v111, v111, v7                               // 0000000064B4: 0ADE0F6F
	v_mul_f32_e32 v108, v108, v204                             // 0000000064B8: 0AD9996C
	v_mul_f32_e32 v109, v109, v205                             // 0000000064BC: 0ADB9B6D
	v_mul_f32_e32 v110, v110, v206                             // 0000000064C0: 0ADD9D6E
	v_mul_f32_e32 v111, v111, v207                             // 0000000064C4: 0ADF9F6F
	v_mul_f32_e64 v4, -v112, s6                                // 0000000064C8: D1050004 20000D70
	v_mul_f32_e64 v5, -v113, s6                                // 0000000064D0: D1050005 20000D71
	v_mul_f32_e64 v6, -v114, s6                                // 0000000064D8: D1050006 20000D72
	v_mul_f32_e64 v7, -v115, s6                                // 0000000064E0: D1050007 20000D73
	v_exp_f32_e32 v4, v4                                       // 0000000064E8: 7E084104
	v_exp_f32_e32 v5, v5                                       // 0000000064EC: 7E0A4105
	v_exp_f32_e32 v6, v6                                       // 0000000064F0: 7E0C4106
	v_exp_f32_e32 v7, v7                                       // 0000000064F4: 7E0E4107
	v_add_f32_e64 v4, v4, 1.0                                  // 0000000064F8: D1010004 0001E504
	v_add_f32_e64 v5, v5, 1.0                                  // 000000006500: D1010005 0001E505
	v_add_f32_e64 v6, v6, 1.0                                  // 000000006508: D1010006 0001E506
	v_add_f32_e64 v7, v7, 1.0                                  // 000000006510: D1010007 0001E507
	v_rcp_f32_e32 v4, v4                                       // 000000006518: 7E084504
	v_rcp_f32_e32 v5, v5                                       // 00000000651C: 7E0A4505
	v_rcp_f32_e32 v6, v6                                       // 000000006520: 7E0C4506
	v_rcp_f32_e32 v7, v7                                       // 000000006524: 7E0E4507
	v_mul_f32_e32 v112, v112, v4                               // 000000006528: 0AE00970
	v_mul_f32_e32 v113, v113, v5                               // 00000000652C: 0AE20B71
	v_mul_f32_e32 v114, v114, v6                               // 000000006530: 0AE40D72
	v_mul_f32_e32 v115, v115, v7                               // 000000006534: 0AE60F73
	v_mul_f32_e32 v112, v112, v208                             // 000000006538: 0AE1A170
	v_mul_f32_e32 v113, v113, v209                             // 00000000653C: 0AE3A371
	v_mul_f32_e32 v114, v114, v210                             // 000000006540: 0AE5A572
	v_mul_f32_e32 v115, v115, v211                             // 000000006544: 0AE7A773
	v_mul_f32_e64 v4, -v116, s6                                // 000000006548: D1050004 20000D74
	v_mul_f32_e64 v5, -v117, s6                                // 000000006550: D1050005 20000D75
	v_mul_f32_e64 v6, -v118, s6                                // 000000006558: D1050006 20000D76
	v_mul_f32_e64 v7, -v119, s6                                // 000000006560: D1050007 20000D77
	v_exp_f32_e32 v4, v4                                       // 000000006568: 7E084104
	v_exp_f32_e32 v5, v5                                       // 00000000656C: 7E0A4105
	v_exp_f32_e32 v6, v6                                       // 000000006570: 7E0C4106
	v_exp_f32_e32 v7, v7                                       // 000000006574: 7E0E4107
	v_add_f32_e64 v4, v4, 1.0                                  // 000000006578: D1010004 0001E504
	v_add_f32_e64 v5, v5, 1.0                                  // 000000006580: D1010005 0001E505
	v_add_f32_e64 v6, v6, 1.0                                  // 000000006588: D1010006 0001E506
	v_add_f32_e64 v7, v7, 1.0                                  // 000000006590: D1010007 0001E507
	v_rcp_f32_e32 v4, v4                                       // 000000006598: 7E084504
	v_rcp_f32_e32 v5, v5                                       // 00000000659C: 7E0A4505
	v_rcp_f32_e32 v6, v6                                       // 0000000065A0: 7E0C4506
	v_rcp_f32_e32 v7, v7                                       // 0000000065A4: 7E0E4507
	v_mul_f32_e32 v116, v116, v4                               // 0000000065A8: 0AE80974
	v_mul_f32_e32 v117, v117, v5                               // 0000000065AC: 0AEA0B75
	v_mul_f32_e32 v118, v118, v6                               // 0000000065B0: 0AEC0D76
	v_mul_f32_e32 v119, v119, v7                               // 0000000065B4: 0AEE0F77
	v_mul_f32_e32 v116, v116, v212                             // 0000000065B8: 0AE9A974
	v_mul_f32_e32 v117, v117, v213                             // 0000000065BC: 0AEBAB75
	v_mul_f32_e32 v118, v118, v214                             // 0000000065C0: 0AEDAD76
	v_mul_f32_e32 v119, v119, v215                             // 0000000065C4: 0AEFAF77
	v_mul_f32_e64 v4, -v120, s6                                // 0000000065C8: D1050004 20000D78
	v_mul_f32_e64 v5, -v121, s6                                // 0000000065D0: D1050005 20000D79
	v_mul_f32_e64 v6, -v122, s6                                // 0000000065D8: D1050006 20000D7A
	v_mul_f32_e64 v7, -v123, s6                                // 0000000065E0: D1050007 20000D7B
	v_exp_f32_e32 v4, v4                                       // 0000000065E8: 7E084104
	v_exp_f32_e32 v5, v5                                       // 0000000065EC: 7E0A4105
	v_exp_f32_e32 v6, v6                                       // 0000000065F0: 7E0C4106
	v_exp_f32_e32 v7, v7                                       // 0000000065F4: 7E0E4107
	v_add_f32_e64 v4, v4, 1.0                                  // 0000000065F8: D1010004 0001E504
	v_add_f32_e64 v5, v5, 1.0                                  // 000000006600: D1010005 0001E505
	v_add_f32_e64 v6, v6, 1.0                                  // 000000006608: D1010006 0001E506
	v_add_f32_e64 v7, v7, 1.0                                  // 000000006610: D1010007 0001E507
	v_rcp_f32_e32 v4, v4                                       // 000000006618: 7E084504
	v_rcp_f32_e32 v5, v5                                       // 00000000661C: 7E0A4505
	v_rcp_f32_e32 v6, v6                                       // 000000006620: 7E0C4506
	v_rcp_f32_e32 v7, v7                                       // 000000006624: 7E0E4507
	v_mul_f32_e32 v120, v120, v4                               // 000000006628: 0AF00978
	v_mul_f32_e32 v121, v121, v5                               // 00000000662C: 0AF20B79
	v_mul_f32_e32 v122, v122, v6                               // 000000006630: 0AF40D7A
	v_mul_f32_e32 v123, v123, v7                               // 000000006634: 0AF60F7B
	v_mul_f32_e32 v120, v120, v216                             // 000000006638: 0AF1B178
	v_mul_f32_e32 v121, v121, v217                             // 00000000663C: 0AF3B379
	v_mul_f32_e32 v122, v122, v218                             // 000000006640: 0AF5B57A
	v_mul_f32_e32 v123, v123, v219                             // 000000006644: 0AF7B77B
	v_mul_f32_e64 v4, -v124, s6                                // 000000006648: D1050004 20000D7C
	v_mul_f32_e64 v5, -v125, s6                                // 000000006650: D1050005 20000D7D
	v_mul_f32_e64 v6, -v126, s6                                // 000000006658: D1050006 20000D7E
	v_mul_f32_e64 v7, -v127, s6                                // 000000006660: D1050007 20000D7F
	v_exp_f32_e32 v4, v4                                       // 000000006668: 7E084104
	v_exp_f32_e32 v5, v5                                       // 00000000666C: 7E0A4105
	v_exp_f32_e32 v6, v6                                       // 000000006670: 7E0C4106
	v_exp_f32_e32 v7, v7                                       // 000000006674: 7E0E4107
	v_add_f32_e64 v4, v4, 1.0                                  // 000000006678: D1010004 0001E504
	v_add_f32_e64 v5, v5, 1.0                                  // 000000006680: D1010005 0001E505
	v_add_f32_e64 v6, v6, 1.0                                  // 000000006688: D1010006 0001E506
	v_add_f32_e64 v7, v7, 1.0                                  // 000000006690: D1010007 0001E507
	v_rcp_f32_e32 v4, v4                                       // 000000006698: 7E084504
	v_rcp_f32_e32 v5, v5                                       // 00000000669C: 7E0A4505
	v_rcp_f32_e32 v6, v6                                       // 0000000066A0: 7E0C4506
	v_rcp_f32_e32 v7, v7                                       // 0000000066A4: 7E0E4507
	v_mul_f32_e32 v124, v124, v4                               // 0000000066A8: 0AF8097C
	v_mul_f32_e32 v125, v125, v5                               // 0000000066AC: 0AFA0B7D
	v_mul_f32_e32 v126, v126, v6                               // 0000000066B0: 0AFC0D7E
	v_mul_f32_e32 v127, v127, v7                               // 0000000066B4: 0AFE0F7F
	v_mul_f32_e32 v124, v124, v220                             // 0000000066B8: 0AF9B97C
	v_mul_f32_e32 v125, v125, v221                             // 0000000066BC: 0AFBBB7D
	v_mul_f32_e32 v126, v126, v222                             // 0000000066C0: 0AFDBD7E
	v_mul_f32_e32 v127, v127, v223                             // 0000000066C4: 0AFFBF7F
	v_mul_f32_e64 v4, -v128, s6                                // 0000000066C8: D1050004 20000D80
	v_mul_f32_e64 v5, -v129, s6                                // 0000000066D0: D1050005 20000D81
	v_mul_f32_e64 v6, -v130, s6                                // 0000000066D8: D1050006 20000D82
	v_mul_f32_e64 v7, -v131, s6                                // 0000000066E0: D1050007 20000D83
	v_exp_f32_e32 v4, v4                                       // 0000000066E8: 7E084104
	v_exp_f32_e32 v5, v5                                       // 0000000066EC: 7E0A4105
	v_exp_f32_e32 v6, v6                                       // 0000000066F0: 7E0C4106
	v_exp_f32_e32 v7, v7                                       // 0000000066F4: 7E0E4107
	v_add_f32_e64 v4, v4, 1.0                                  // 0000000066F8: D1010004 0001E504
	v_add_f32_e64 v5, v5, 1.0                                  // 000000006700: D1010005 0001E505
	v_add_f32_e64 v6, v6, 1.0                                  // 000000006708: D1010006 0001E506
	v_add_f32_e64 v7, v7, 1.0                                  // 000000006710: D1010007 0001E507
	v_rcp_f32_e32 v4, v4                                       // 000000006718: 7E084504
	v_rcp_f32_e32 v5, v5                                       // 00000000671C: 7E0A4505
	v_rcp_f32_e32 v6, v6                                       // 000000006720: 7E0C4506
	v_rcp_f32_e32 v7, v7                                       // 000000006724: 7E0E4507
	v_mul_f32_e32 v128, v128, v4                               // 000000006728: 0B000980
	v_mul_f32_e32 v129, v129, v5                               // 00000000672C: 0B020B81
	v_mul_f32_e32 v130, v130, v6                               // 000000006730: 0B040D82
	v_mul_f32_e32 v131, v131, v7                               // 000000006734: 0B060F83
	v_mul_f32_e32 v128, v128, v224                             // 000000006738: 0B01C180
	v_mul_f32_e32 v129, v129, v225                             // 00000000673C: 0B03C381
	v_mul_f32_e32 v130, v130, v226                             // 000000006740: 0B05C582
	v_mul_f32_e32 v131, v131, v227                             // 000000006744: 0B07C783
	v_mul_f32_e64 v4, -v132, s6                                // 000000006748: D1050004 20000D84
	v_mul_f32_e64 v5, -v133, s6                                // 000000006750: D1050005 20000D85
	v_mul_f32_e64 v6, -v134, s6                                // 000000006758: D1050006 20000D86
	v_mul_f32_e64 v7, -v135, s6                                // 000000006760: D1050007 20000D87
	v_exp_f32_e32 v4, v4                                       // 000000006768: 7E084104
	v_exp_f32_e32 v5, v5                                       // 00000000676C: 7E0A4105
	v_exp_f32_e32 v6, v6                                       // 000000006770: 7E0C4106
	v_exp_f32_e32 v7, v7                                       // 000000006774: 7E0E4107
	v_add_f32_e64 v4, v4, 1.0                                  // 000000006778: D1010004 0001E504
	v_add_f32_e64 v5, v5, 1.0                                  // 000000006780: D1010005 0001E505
	v_add_f32_e64 v6, v6, 1.0                                  // 000000006788: D1010006 0001E506
	v_add_f32_e64 v7, v7, 1.0                                  // 000000006790: D1010007 0001E507
	v_rcp_f32_e32 v4, v4                                       // 000000006798: 7E084504
	v_rcp_f32_e32 v5, v5                                       // 00000000679C: 7E0A4505
	v_rcp_f32_e32 v6, v6                                       // 0000000067A0: 7E0C4506
	v_rcp_f32_e32 v7, v7                                       // 0000000067A4: 7E0E4507
	v_mul_f32_e32 v132, v132, v4                               // 0000000067A8: 0B080984
	v_mul_f32_e32 v133, v133, v5                               // 0000000067AC: 0B0A0B85
	v_mul_f32_e32 v134, v134, v6                               // 0000000067B0: 0B0C0D86
	v_mul_f32_e32 v135, v135, v7                               // 0000000067B4: 0B0E0F87
	v_mul_f32_e32 v132, v132, v228                             // 0000000067B8: 0B09C984
	v_mul_f32_e32 v133, v133, v229                             // 0000000067BC: 0B0BCB85
	v_mul_f32_e32 v134, v134, v230                             // 0000000067C0: 0B0DCD86
	v_mul_f32_e32 v135, v135, v231                             // 0000000067C4: 0B0FCF87
	v_mul_f32_e64 v4, -v136, s6                                // 0000000067C8: D1050004 20000D88
	v_mul_f32_e64 v5, -v137, s6                                // 0000000067D0: D1050005 20000D89
	v_mul_f32_e64 v6, -v138, s6                                // 0000000067D8: D1050006 20000D8A
	v_mul_f32_e64 v7, -v139, s6                                // 0000000067E0: D1050007 20000D8B
	v_exp_f32_e32 v4, v4                                       // 0000000067E8: 7E084104
	v_exp_f32_e32 v5, v5                                       // 0000000067EC: 7E0A4105
	v_exp_f32_e32 v6, v6                                       // 0000000067F0: 7E0C4106
	v_exp_f32_e32 v7, v7                                       // 0000000067F4: 7E0E4107
	v_add_f32_e64 v4, v4, 1.0                                  // 0000000067F8: D1010004 0001E504
	v_add_f32_e64 v5, v5, 1.0                                  // 000000006800: D1010005 0001E505
	v_add_f32_e64 v6, v6, 1.0                                  // 000000006808: D1010006 0001E506
	v_add_f32_e64 v7, v7, 1.0                                  // 000000006810: D1010007 0001E507
	v_rcp_f32_e32 v4, v4                                       // 000000006818: 7E084504
	v_rcp_f32_e32 v5, v5                                       // 00000000681C: 7E0A4505
	v_rcp_f32_e32 v6, v6                                       // 000000006820: 7E0C4506
	v_rcp_f32_e32 v7, v7                                       // 000000006824: 7E0E4507
	v_mul_f32_e32 v136, v136, v4                               // 000000006828: 0B100988
	v_mul_f32_e32 v137, v137, v5                               // 00000000682C: 0B120B89
	v_mul_f32_e32 v138, v138, v6                               // 000000006830: 0B140D8A
	v_mul_f32_e32 v139, v139, v7                               // 000000006834: 0B160F8B
	v_mul_f32_e32 v136, v136, v232                             // 000000006838: 0B11D188
	v_mul_f32_e32 v137, v137, v233                             // 00000000683C: 0B13D389
	v_mul_f32_e32 v138, v138, v234                             // 000000006840: 0B15D58A
	v_mul_f32_e32 v139, v139, v235                             // 000000006844: 0B17D78B
	v_mul_f32_e64 v4, -v140, s6                                // 000000006848: D1050004 20000D8C
	v_mul_f32_e64 v5, -v141, s6                                // 000000006850: D1050005 20000D8D
	v_mul_f32_e64 v6, -v142, s6                                // 000000006858: D1050006 20000D8E
	v_mul_f32_e64 v7, -v143, s6                                // 000000006860: D1050007 20000D8F
	v_exp_f32_e32 v4, v4                                       // 000000006868: 7E084104
	v_exp_f32_e32 v5, v5                                       // 00000000686C: 7E0A4105
	v_exp_f32_e32 v6, v6                                       // 000000006870: 7E0C4106
	v_exp_f32_e32 v7, v7                                       // 000000006874: 7E0E4107
	v_add_f32_e64 v4, v4, 1.0                                  // 000000006878: D1010004 0001E504
	v_add_f32_e64 v5, v5, 1.0                                  // 000000006880: D1010005 0001E505
	v_add_f32_e64 v6, v6, 1.0                                  // 000000006888: D1010006 0001E506
	v_add_f32_e64 v7, v7, 1.0                                  // 000000006890: D1010007 0001E507
	v_rcp_f32_e32 v4, v4                                       // 000000006898: 7E084504
	v_rcp_f32_e32 v5, v5                                       // 00000000689C: 7E0A4505
	v_rcp_f32_e32 v6, v6                                       // 0000000068A0: 7E0C4506
	v_rcp_f32_e32 v7, v7                                       // 0000000068A4: 7E0E4507
	v_mul_f32_e32 v140, v140, v4                               // 0000000068A8: 0B18098C
	v_mul_f32_e32 v141, v141, v5                               // 0000000068AC: 0B1A0B8D
	v_mul_f32_e32 v142, v142, v6                               // 0000000068B0: 0B1C0D8E
	v_mul_f32_e32 v143, v143, v7                               // 0000000068B4: 0B1E0F8F
	v_mul_f32_e32 v140, v140, v236                             // 0000000068B8: 0B19D98C
	v_mul_f32_e32 v141, v141, v237                             // 0000000068BC: 0B1BDB8D
	v_mul_f32_e32 v142, v142, v238                             // 0000000068C0: 0B1DDD8E
	v_mul_f32_e32 v143, v143, v239                             // 0000000068C4: 0B1FDF8F
	v_mul_f32_e64 v4, -v144, s6                                // 0000000068C8: D1050004 20000D90
	v_mul_f32_e64 v5, -v145, s6                                // 0000000068D0: D1050005 20000D91
	v_mul_f32_e64 v6, -v146, s6                                // 0000000068D8: D1050006 20000D92
	v_mul_f32_e64 v7, -v147, s6                                // 0000000068E0: D1050007 20000D93
	v_exp_f32_e32 v4, v4                                       // 0000000068E8: 7E084104
	v_exp_f32_e32 v5, v5                                       // 0000000068EC: 7E0A4105
	v_exp_f32_e32 v6, v6                                       // 0000000068F0: 7E0C4106
	v_exp_f32_e32 v7, v7                                       // 0000000068F4: 7E0E4107
	v_add_f32_e64 v4, v4, 1.0                                  // 0000000068F8: D1010004 0001E504
	v_add_f32_e64 v5, v5, 1.0                                  // 000000006900: D1010005 0001E505
	v_add_f32_e64 v6, v6, 1.0                                  // 000000006908: D1010006 0001E506
	v_add_f32_e64 v7, v7, 1.0                                  // 000000006910: D1010007 0001E507
	v_rcp_f32_e32 v4, v4                                       // 000000006918: 7E084504
	v_rcp_f32_e32 v5, v5                                       // 00000000691C: 7E0A4505
	v_rcp_f32_e32 v6, v6                                       // 000000006920: 7E0C4506
	v_rcp_f32_e32 v7, v7                                       // 000000006924: 7E0E4507
	v_mul_f32_e32 v144, v144, v4                               // 000000006928: 0B200990
	v_mul_f32_e32 v145, v145, v5                               // 00000000692C: 0B220B91
	v_mul_f32_e32 v146, v146, v6                               // 000000006930: 0B240D92
	v_mul_f32_e32 v147, v147, v7                               // 000000006934: 0B260F93
	v_mul_f32_e32 v144, v144, v240                             // 000000006938: 0B21E190
	v_mul_f32_e32 v145, v145, v241                             // 00000000693C: 0B23E391
	v_mul_f32_e32 v146, v146, v242                             // 000000006940: 0B25E592
	v_mul_f32_e32 v147, v147, v243                             // 000000006944: 0B27E793
	v_mul_f32_e64 v4, -v148, s6                                // 000000006948: D1050004 20000D94
	v_mul_f32_e64 v5, -v149, s6                                // 000000006950: D1050005 20000D95
	v_mul_f32_e64 v6, -v150, s6                                // 000000006958: D1050006 20000D96
	v_mul_f32_e64 v7, -v151, s6                                // 000000006960: D1050007 20000D97
	v_exp_f32_e32 v4, v4                                       // 000000006968: 7E084104
	v_exp_f32_e32 v5, v5                                       // 00000000696C: 7E0A4105
	v_exp_f32_e32 v6, v6                                       // 000000006970: 7E0C4106
	v_exp_f32_e32 v7, v7                                       // 000000006974: 7E0E4107
	v_add_f32_e64 v4, v4, 1.0                                  // 000000006978: D1010004 0001E504
	v_add_f32_e64 v5, v5, 1.0                                  // 000000006980: D1010005 0001E505
	v_add_f32_e64 v6, v6, 1.0                                  // 000000006988: D1010006 0001E506
	v_add_f32_e64 v7, v7, 1.0                                  // 000000006990: D1010007 0001E507
	v_rcp_f32_e32 v4, v4                                       // 000000006998: 7E084504
	v_rcp_f32_e32 v5, v5                                       // 00000000699C: 7E0A4505
	v_rcp_f32_e32 v6, v6                                       // 0000000069A0: 7E0C4506
	v_rcp_f32_e32 v7, v7                                       // 0000000069A4: 7E0E4507
	v_mul_f32_e32 v148, v148, v4                               // 0000000069A8: 0B280994
	v_mul_f32_e32 v149, v149, v5                               // 0000000069AC: 0B2A0B95
	v_mul_f32_e32 v150, v150, v6                               // 0000000069B0: 0B2C0D96
	v_mul_f32_e32 v151, v151, v7                               // 0000000069B4: 0B2E0F97
	v_mul_f32_e32 v148, v148, v244                             // 0000000069B8: 0B29E994
	v_mul_f32_e32 v149, v149, v245                             // 0000000069BC: 0B2BEB95
	v_mul_f32_e32 v150, v150, v246                             // 0000000069C0: 0B2DED96
	v_mul_f32_e32 v151, v151, v247                             // 0000000069C4: 0B2FEF97

00000000000069c8 <label_0FF2>:
	v_cmp_u_f32_e64 s[46:47], v56, v56                         // 0000000069C8: D048002E 00027138
	v_add3_u32 v16, v56, v19, 1                                // 0000000069D0: D1FF0010 02062738
	v_cndmask_b32_e64 v4, v16, v18, s[46:47]                   // 0000000069D8: D1000004 00BA2510
	v_cmp_u_f32_e64 s[46:47], v57, v57                         // 0000000069E0: D048002E 00027339
	v_add3_u32 v16, v57, v19, 1                                // 0000000069E8: D1FF0010 02062739
	v_cndmask_b32_e64 v5, v16, v18, s[46:47]                   // 0000000069F0: D1000005 00BA2510
	v_perm_b32 v56, v5, v4, s52                                // 0000000069F8: D1ED0038 00D20905
	v_cmp_u_f32_e64 s[46:47], v58, v58                         // 000000006A00: D048002E 0002753A
	v_add3_u32 v16, v58, v19, 1                                // 000000006A08: D1FF0010 0206273A
	v_cndmask_b32_e64 v4, v16, v18, s[46:47]                   // 000000006A10: D1000004 00BA2510
	v_cmp_u_f32_e64 s[46:47], v59, v59                         // 000000006A18: D048002E 0002773B
	v_add3_u32 v16, v59, v19, 1                                // 000000006A20: D1FF0010 0206273B
	v_cndmask_b32_e64 v5, v16, v18, s[46:47]                   // 000000006A28: D1000005 00BA2510
	v_perm_b32 v57, v5, v4, s52                                // 000000006A30: D1ED0039 00D20905
	v_cmp_u_f32_e64 s[46:47], v60, v60                         // 000000006A38: D048002E 0002793C
	v_add3_u32 v16, v60, v19, 1                                // 000000006A40: D1FF0010 0206273C
	v_cndmask_b32_e64 v4, v16, v18, s[46:47]                   // 000000006A48: D1000004 00BA2510
	v_cmp_u_f32_e64 s[46:47], v61, v61                         // 000000006A50: D048002E 00027B3D
	v_add3_u32 v16, v61, v19, 1                                // 000000006A58: D1FF0010 0206273D
	v_cndmask_b32_e64 v5, v16, v18, s[46:47]                   // 000000006A60: D1000005 00BA2510
	v_perm_b32 v58, v5, v4, s52                                // 000000006A68: D1ED003A 00D20905
	v_cmp_u_f32_e64 s[46:47], v62, v62                         // 000000006A70: D048002E 00027D3E
	v_add3_u32 v16, v62, v19, 1                                // 000000006A78: D1FF0010 0206273E
	v_cndmask_b32_e64 v4, v16, v18, s[46:47]                   // 000000006A80: D1000004 00BA2510
	v_cmp_u_f32_e64 s[46:47], v63, v63                         // 000000006A88: D048002E 00027F3F
	v_add3_u32 v16, v63, v19, 1                                // 000000006A90: D1FF0010 0206273F
	v_cndmask_b32_e64 v5, v16, v18, s[46:47]                   // 000000006A98: D1000005 00BA2510
	v_perm_b32 v59, v5, v4, s52                                // 000000006AA0: D1ED003B 00D20905
	v_cmp_u_f32_e64 s[46:47], v64, v64                         // 000000006AA8: D048002E 00028140
	v_add3_u32 v16, v64, v19, 1                                // 000000006AB0: D1FF0010 02062740
	v_cndmask_b32_e64 v4, v16, v18, s[46:47]                   // 000000006AB8: D1000004 00BA2510
	v_cmp_u_f32_e64 s[46:47], v65, v65                         // 000000006AC0: D048002E 00028341
	v_add3_u32 v16, v65, v19, 1                                // 000000006AC8: D1FF0010 02062741
	v_cndmask_b32_e64 v5, v16, v18, s[46:47]                   // 000000006AD0: D1000005 00BA2510
	v_perm_b32 v60, v5, v4, s52                                // 000000006AD8: D1ED003C 00D20905
	v_cmp_u_f32_e64 s[46:47], v66, v66                         // 000000006AE0: D048002E 00028542
	v_add3_u32 v16, v66, v19, 1                                // 000000006AE8: D1FF0010 02062742
	v_cndmask_b32_e64 v4, v16, v18, s[46:47]                   // 000000006AF0: D1000004 00BA2510
	v_cmp_u_f32_e64 s[46:47], v67, v67                         // 000000006AF8: D048002E 00028743
	v_add3_u32 v16, v67, v19, 1                                // 000000006B00: D1FF0010 02062743
	v_cndmask_b32_e64 v5, v16, v18, s[46:47]                   // 000000006B08: D1000005 00BA2510
	v_perm_b32 v61, v5, v4, s52                                // 000000006B10: D1ED003D 00D20905
	v_cmp_u_f32_e64 s[46:47], v68, v68                         // 000000006B18: D048002E 00028944
	v_add3_u32 v16, v68, v19, 1                                // 000000006B20: D1FF0010 02062744
	v_cndmask_b32_e64 v4, v16, v18, s[46:47]                   // 000000006B28: D1000004 00BA2510
	v_cmp_u_f32_e64 s[46:47], v69, v69                         // 000000006B30: D048002E 00028B45
	v_add3_u32 v16, v69, v19, 1                                // 000000006B38: D1FF0010 02062745
	v_cndmask_b32_e64 v5, v16, v18, s[46:47]                   // 000000006B40: D1000005 00BA2510
	v_perm_b32 v62, v5, v4, s52                                // 000000006B48: D1ED003E 00D20905
	v_cmp_u_f32_e64 s[46:47], v70, v70                         // 000000006B50: D048002E 00028D46
	v_add3_u32 v16, v70, v19, 1                                // 000000006B58: D1FF0010 02062746
	v_cndmask_b32_e64 v4, v16, v18, s[46:47]                   // 000000006B60: D1000004 00BA2510
	v_cmp_u_f32_e64 s[46:47], v71, v71                         // 000000006B68: D048002E 00028F47
	v_add3_u32 v16, v71, v19, 1                                // 000000006B70: D1FF0010 02062747
	v_cndmask_b32_e64 v5, v16, v18, s[46:47]                   // 000000006B78: D1000005 00BA2510
	v_perm_b32 v63, v5, v4, s52                                // 000000006B80: D1ED003F 00D20905
	v_cmp_u_f32_e64 s[46:47], v72, v72                         // 000000006B88: D048002E 00029148
	v_add3_u32 v16, v72, v19, 1                                // 000000006B90: D1FF0010 02062748
	v_cndmask_b32_e64 v4, v16, v18, s[46:47]                   // 000000006B98: D1000004 00BA2510
	v_cmp_u_f32_e64 s[46:47], v73, v73                         // 000000006BA0: D048002E 00029349
	v_add3_u32 v16, v73, v19, 1                                // 000000006BA8: D1FF0010 02062749
	v_cndmask_b32_e64 v5, v16, v18, s[46:47]                   // 000000006BB0: D1000005 00BA2510
	v_perm_b32 v64, v5, v4, s52                                // 000000006BB8: D1ED0040 00D20905
	v_cmp_u_f32_e64 s[46:47], v74, v74                         // 000000006BC0: D048002E 0002954A
	v_add3_u32 v16, v74, v19, 1                                // 000000006BC8: D1FF0010 0206274A
	v_cndmask_b32_e64 v4, v16, v18, s[46:47]                   // 000000006BD0: D1000004 00BA2510
	v_cmp_u_f32_e64 s[46:47], v75, v75                         // 000000006BD8: D048002E 0002974B
	v_add3_u32 v16, v75, v19, 1                                // 000000006BE0: D1FF0010 0206274B
	v_cndmask_b32_e64 v5, v16, v18, s[46:47]                   // 000000006BE8: D1000005 00BA2510
	v_perm_b32 v65, v5, v4, s52                                // 000000006BF0: D1ED0041 00D20905
	v_cmp_u_f32_e64 s[46:47], v76, v76                         // 000000006BF8: D048002E 0002994C
	v_add3_u32 v16, v76, v19, 1                                // 000000006C00: D1FF0010 0206274C
	v_cndmask_b32_e64 v4, v16, v18, s[46:47]                   // 000000006C08: D1000004 00BA2510
	v_cmp_u_f32_e64 s[46:47], v77, v77                         // 000000006C10: D048002E 00029B4D
	v_add3_u32 v16, v77, v19, 1                                // 000000006C18: D1FF0010 0206274D
	v_cndmask_b32_e64 v5, v16, v18, s[46:47]                   // 000000006C20: D1000005 00BA2510
	v_perm_b32 v66, v5, v4, s52                                // 000000006C28: D1ED0042 00D20905
	v_cmp_u_f32_e64 s[46:47], v78, v78                         // 000000006C30: D048002E 00029D4E
	v_add3_u32 v16, v78, v19, 1                                // 000000006C38: D1FF0010 0206274E
	v_cndmask_b32_e64 v4, v16, v18, s[46:47]                   // 000000006C40: D1000004 00BA2510
	v_cmp_u_f32_e64 s[46:47], v79, v79                         // 000000006C48: D048002E 00029F4F
	v_add3_u32 v16, v79, v19, 1                                // 000000006C50: D1FF0010 0206274F
	v_cndmask_b32_e64 v5, v16, v18, s[46:47]                   // 000000006C58: D1000005 00BA2510
	v_perm_b32 v67, v5, v4, s52                                // 000000006C60: D1ED0043 00D20905
	v_cmp_u_f32_e64 s[46:47], v80, v80                         // 000000006C68: D048002E 0002A150
	v_add3_u32 v16, v80, v19, 1                                // 000000006C70: D1FF0010 02062750
	v_cndmask_b32_e64 v4, v16, v18, s[46:47]                   // 000000006C78: D1000004 00BA2510
	v_cmp_u_f32_e64 s[46:47], v81, v81                         // 000000006C80: D048002E 0002A351
	v_add3_u32 v16, v81, v19, 1                                // 000000006C88: D1FF0010 02062751
	v_cndmask_b32_e64 v5, v16, v18, s[46:47]                   // 000000006C90: D1000005 00BA2510
	v_perm_b32 v68, v5, v4, s52                                // 000000006C98: D1ED0044 00D20905
	v_cmp_u_f32_e64 s[46:47], v82, v82                         // 000000006CA0: D048002E 0002A552
	v_add3_u32 v16, v82, v19, 1                                // 000000006CA8: D1FF0010 02062752
	v_cndmask_b32_e64 v4, v16, v18, s[46:47]                   // 000000006CB0: D1000004 00BA2510
	v_cmp_u_f32_e64 s[46:47], v83, v83                         // 000000006CB8: D048002E 0002A753
	v_add3_u32 v16, v83, v19, 1                                // 000000006CC0: D1FF0010 02062753
	v_cndmask_b32_e64 v5, v16, v18, s[46:47]                   // 000000006CC8: D1000005 00BA2510
	v_perm_b32 v69, v5, v4, s52                                // 000000006CD0: D1ED0045 00D20905
	v_cmp_u_f32_e64 s[46:47], v84, v84                         // 000000006CD8: D048002E 0002A954
	v_add3_u32 v16, v84, v19, 1                                // 000000006CE0: D1FF0010 02062754
	v_cndmask_b32_e64 v4, v16, v18, s[46:47]                   // 000000006CE8: D1000004 00BA2510
	v_cmp_u_f32_e64 s[46:47], v85, v85                         // 000000006CF0: D048002E 0002AB55
	v_add3_u32 v16, v85, v19, 1                                // 000000006CF8: D1FF0010 02062755
	v_cndmask_b32_e64 v5, v16, v18, s[46:47]                   // 000000006D00: D1000005 00BA2510
	v_perm_b32 v70, v5, v4, s52                                // 000000006D08: D1ED0046 00D20905
	v_cmp_u_f32_e64 s[46:47], v86, v86                         // 000000006D10: D048002E 0002AD56
	v_add3_u32 v16, v86, v19, 1                                // 000000006D18: D1FF0010 02062756
	v_cndmask_b32_e64 v4, v16, v18, s[46:47]                   // 000000006D20: D1000004 00BA2510
	v_cmp_u_f32_e64 s[46:47], v87, v87                         // 000000006D28: D048002E 0002AF57
	v_add3_u32 v16, v87, v19, 1                                // 000000006D30: D1FF0010 02062757
	v_cndmask_b32_e64 v5, v16, v18, s[46:47]                   // 000000006D38: D1000005 00BA2510
	v_perm_b32 v71, v5, v4, s52                                // 000000006D40: D1ED0047 00D20905
	v_cmp_u_f32_e64 s[46:47], v88, v88                         // 000000006D48: D048002E 0002B158
	v_add3_u32 v16, v88, v19, 1                                // 000000006D50: D1FF0010 02062758
	v_cndmask_b32_e64 v4, v16, v18, s[46:47]                   // 000000006D58: D1000004 00BA2510
	v_cmp_u_f32_e64 s[46:47], v89, v89                         // 000000006D60: D048002E 0002B359
	v_add3_u32 v16, v89, v19, 1                                // 000000006D68: D1FF0010 02062759
	v_cndmask_b32_e64 v5, v16, v18, s[46:47]                   // 000000006D70: D1000005 00BA2510
	v_perm_b32 v72, v5, v4, s52                                // 000000006D78: D1ED0048 00D20905
	v_cmp_u_f32_e64 s[46:47], v90, v90                         // 000000006D80: D048002E 0002B55A
	v_add3_u32 v16, v90, v19, 1                                // 000000006D88: D1FF0010 0206275A
	v_cndmask_b32_e64 v4, v16, v18, s[46:47]                   // 000000006D90: D1000004 00BA2510
	v_cmp_u_f32_e64 s[46:47], v91, v91                         // 000000006D98: D048002E 0002B75B
	v_add3_u32 v16, v91, v19, 1                                // 000000006DA0: D1FF0010 0206275B
	v_cndmask_b32_e64 v5, v16, v18, s[46:47]                   // 000000006DA8: D1000005 00BA2510
	v_perm_b32 v73, v5, v4, s52                                // 000000006DB0: D1ED0049 00D20905
	v_cmp_u_f32_e64 s[46:47], v92, v92                         // 000000006DB8: D048002E 0002B95C
	v_add3_u32 v16, v92, v19, 1                                // 000000006DC0: D1FF0010 0206275C
	v_cndmask_b32_e64 v4, v16, v18, s[46:47]                   // 000000006DC8: D1000004 00BA2510
	v_cmp_u_f32_e64 s[46:47], v93, v93                         // 000000006DD0: D048002E 0002BB5D
	v_add3_u32 v16, v93, v19, 1                                // 000000006DD8: D1FF0010 0206275D
	v_cndmask_b32_e64 v5, v16, v18, s[46:47]                   // 000000006DE0: D1000005 00BA2510
	v_perm_b32 v74, v5, v4, s52                                // 000000006DE8: D1ED004A 00D20905
	v_cmp_u_f32_e64 s[46:47], v94, v94                         // 000000006DF0: D048002E 0002BD5E
	v_add3_u32 v16, v94, v19, 1                                // 000000006DF8: D1FF0010 0206275E
	v_cndmask_b32_e64 v4, v16, v18, s[46:47]                   // 000000006E00: D1000004 00BA2510
	v_cmp_u_f32_e64 s[46:47], v95, v95                         // 000000006E08: D048002E 0002BF5F
	v_add3_u32 v16, v95, v19, 1                                // 000000006E10: D1FF0010 0206275F
	v_cndmask_b32_e64 v5, v16, v18, s[46:47]                   // 000000006E18: D1000005 00BA2510
	v_perm_b32 v75, v5, v4, s52                                // 000000006E20: D1ED004B 00D20905
	v_cmp_u_f32_e64 s[46:47], v96, v96                         // 000000006E28: D048002E 0002C160
	v_add3_u32 v16, v96, v19, 1                                // 000000006E30: D1FF0010 02062760
	v_cndmask_b32_e64 v4, v16, v18, s[46:47]                   // 000000006E38: D1000004 00BA2510
	v_cmp_u_f32_e64 s[46:47], v97, v97                         // 000000006E40: D048002E 0002C361
	v_add3_u32 v16, v97, v19, 1                                // 000000006E48: D1FF0010 02062761
	v_cndmask_b32_e64 v5, v16, v18, s[46:47]                   // 000000006E50: D1000005 00BA2510
	v_perm_b32 v76, v5, v4, s52                                // 000000006E58: D1ED004C 00D20905
	v_cmp_u_f32_e64 s[46:47], v98, v98                         // 000000006E60: D048002E 0002C562
	v_add3_u32 v16, v98, v19, 1                                // 000000006E68: D1FF0010 02062762
	v_cndmask_b32_e64 v4, v16, v18, s[46:47]                   // 000000006E70: D1000004 00BA2510
	v_cmp_u_f32_e64 s[46:47], v99, v99                         // 000000006E78: D048002E 0002C763
	v_add3_u32 v16, v99, v19, 1                                // 000000006E80: D1FF0010 02062763
	v_cndmask_b32_e64 v5, v16, v18, s[46:47]                   // 000000006E88: D1000005 00BA2510
	v_perm_b32 v77, v5, v4, s52                                // 000000006E90: D1ED004D 00D20905
	v_cmp_u_f32_e64 s[46:47], v100, v100                       // 000000006E98: D048002E 0002C964
	v_add3_u32 v16, v100, v19, 1                               // 000000006EA0: D1FF0010 02062764
	v_cndmask_b32_e64 v4, v16, v18, s[46:47]                   // 000000006EA8: D1000004 00BA2510
	v_cmp_u_f32_e64 s[46:47], v101, v101                       // 000000006EB0: D048002E 0002CB65
	v_add3_u32 v16, v101, v19, 1                               // 000000006EB8: D1FF0010 02062765
	v_cndmask_b32_e64 v5, v16, v18, s[46:47]                   // 000000006EC0: D1000005 00BA2510
	v_perm_b32 v78, v5, v4, s52                                // 000000006EC8: D1ED004E 00D20905
	v_cmp_u_f32_e64 s[46:47], v102, v102                       // 000000006ED0: D048002E 0002CD66
	v_add3_u32 v16, v102, v19, 1                               // 000000006ED8: D1FF0010 02062766
	v_cndmask_b32_e64 v4, v16, v18, s[46:47]                   // 000000006EE0: D1000004 00BA2510
	v_cmp_u_f32_e64 s[46:47], v103, v103                       // 000000006EE8: D048002E 0002CF67
	v_add3_u32 v16, v103, v19, 1                               // 000000006EF0: D1FF0010 02062767
	v_cndmask_b32_e64 v5, v16, v18, s[46:47]                   // 000000006EF8: D1000005 00BA2510
	v_perm_b32 v79, v5, v4, s52                                // 000000006F00: D1ED004F 00D20905
	v_cmp_u_f32_e64 s[46:47], v104, v104                       // 000000006F08: D048002E 0002D168
	v_add3_u32 v16, v104, v19, 1                               // 000000006F10: D1FF0010 02062768
	v_cndmask_b32_e64 v4, v16, v18, s[46:47]                   // 000000006F18: D1000004 00BA2510
	v_cmp_u_f32_e64 s[46:47], v105, v105                       // 000000006F20: D048002E 0002D369
	v_add3_u32 v16, v105, v19, 1                               // 000000006F28: D1FF0010 02062769
	v_cndmask_b32_e64 v5, v16, v18, s[46:47]                   // 000000006F30: D1000005 00BA2510
	v_perm_b32 v80, v5, v4, s52                                // 000000006F38: D1ED0050 00D20905
	v_cmp_u_f32_e64 s[46:47], v106, v106                       // 000000006F40: D048002E 0002D56A
	v_add3_u32 v16, v106, v19, 1                               // 000000006F48: D1FF0010 0206276A
	v_cndmask_b32_e64 v4, v16, v18, s[46:47]                   // 000000006F50: D1000004 00BA2510
	v_cmp_u_f32_e64 s[46:47], v107, v107                       // 000000006F58: D048002E 0002D76B
	v_add3_u32 v16, v107, v19, 1                               // 000000006F60: D1FF0010 0206276B
	v_cndmask_b32_e64 v5, v16, v18, s[46:47]                   // 000000006F68: D1000005 00BA2510
	v_perm_b32 v81, v5, v4, s52                                // 000000006F70: D1ED0051 00D20905
	v_cmp_u_f32_e64 s[46:47], v108, v108                       // 000000006F78: D048002E 0002D96C
	v_add3_u32 v16, v108, v19, 1                               // 000000006F80: D1FF0010 0206276C
	v_cndmask_b32_e64 v4, v16, v18, s[46:47]                   // 000000006F88: D1000004 00BA2510
	v_cmp_u_f32_e64 s[46:47], v109, v109                       // 000000006F90: D048002E 0002DB6D
	v_add3_u32 v16, v109, v19, 1                               // 000000006F98: D1FF0010 0206276D
	v_cndmask_b32_e64 v5, v16, v18, s[46:47]                   // 000000006FA0: D1000005 00BA2510
	v_perm_b32 v82, v5, v4, s52                                // 000000006FA8: D1ED0052 00D20905
	v_cmp_u_f32_e64 s[46:47], v110, v110                       // 000000006FB0: D048002E 0002DD6E
	v_add3_u32 v16, v110, v19, 1                               // 000000006FB8: D1FF0010 0206276E
	v_cndmask_b32_e64 v4, v16, v18, s[46:47]                   // 000000006FC0: D1000004 00BA2510
	v_cmp_u_f32_e64 s[46:47], v111, v111                       // 000000006FC8: D048002E 0002DF6F
	v_add3_u32 v16, v111, v19, 1                               // 000000006FD0: D1FF0010 0206276F
	v_cndmask_b32_e64 v5, v16, v18, s[46:47]                   // 000000006FD8: D1000005 00BA2510
	v_perm_b32 v83, v5, v4, s52                                // 000000006FE0: D1ED0053 00D20905
	v_cmp_u_f32_e64 s[46:47], v112, v112                       // 000000006FE8: D048002E 0002E170
	v_add3_u32 v16, v112, v19, 1                               // 000000006FF0: D1FF0010 02062770
	v_cndmask_b32_e64 v4, v16, v18, s[46:47]                   // 000000006FF8: D1000004 00BA2510
	v_cmp_u_f32_e64 s[46:47], v113, v113                       // 000000007000: D048002E 0002E371
	v_add3_u32 v16, v113, v19, 1                               // 000000007008: D1FF0010 02062771
	v_cndmask_b32_e64 v5, v16, v18, s[46:47]                   // 000000007010: D1000005 00BA2510
	v_perm_b32 v84, v5, v4, s52                                // 000000007018: D1ED0054 00D20905
	v_cmp_u_f32_e64 s[46:47], v114, v114                       // 000000007020: D048002E 0002E572
	v_add3_u32 v16, v114, v19, 1                               // 000000007028: D1FF0010 02062772
	v_cndmask_b32_e64 v4, v16, v18, s[46:47]                   // 000000007030: D1000004 00BA2510
	v_cmp_u_f32_e64 s[46:47], v115, v115                       // 000000007038: D048002E 0002E773
	v_add3_u32 v16, v115, v19, 1                               // 000000007040: D1FF0010 02062773
	v_cndmask_b32_e64 v5, v16, v18, s[46:47]                   // 000000007048: D1000005 00BA2510
	v_perm_b32 v85, v5, v4, s52                                // 000000007050: D1ED0055 00D20905
	v_cmp_u_f32_e64 s[46:47], v116, v116                       // 000000007058: D048002E 0002E974
	v_add3_u32 v16, v116, v19, 1                               // 000000007060: D1FF0010 02062774
	v_cndmask_b32_e64 v4, v16, v18, s[46:47]                   // 000000007068: D1000004 00BA2510
	v_cmp_u_f32_e64 s[46:47], v117, v117                       // 000000007070: D048002E 0002EB75
	v_add3_u32 v16, v117, v19, 1                               // 000000007078: D1FF0010 02062775
	v_cndmask_b32_e64 v5, v16, v18, s[46:47]                   // 000000007080: D1000005 00BA2510
	v_perm_b32 v86, v5, v4, s52                                // 000000007088: D1ED0056 00D20905
	v_cmp_u_f32_e64 s[46:47], v118, v118                       // 000000007090: D048002E 0002ED76
	v_add3_u32 v16, v118, v19, 1                               // 000000007098: D1FF0010 02062776
	v_cndmask_b32_e64 v4, v16, v18, s[46:47]                   // 0000000070A0: D1000004 00BA2510
	v_cmp_u_f32_e64 s[46:47], v119, v119                       // 0000000070A8: D048002E 0002EF77
	v_add3_u32 v16, v119, v19, 1                               // 0000000070B0: D1FF0010 02062777
	v_cndmask_b32_e64 v5, v16, v18, s[46:47]                   // 0000000070B8: D1000005 00BA2510
	v_perm_b32 v87, v5, v4, s52                                // 0000000070C0: D1ED0057 00D20905
	v_cmp_u_f32_e64 s[46:47], v120, v120                       // 0000000070C8: D048002E 0002F178
	v_add3_u32 v16, v120, v19, 1                               // 0000000070D0: D1FF0010 02062778
	v_cndmask_b32_e64 v4, v16, v18, s[46:47]                   // 0000000070D8: D1000004 00BA2510
	v_cmp_u_f32_e64 s[46:47], v121, v121                       // 0000000070E0: D048002E 0002F379
	v_add3_u32 v16, v121, v19, 1                               // 0000000070E8: D1FF0010 02062779
	v_cndmask_b32_e64 v5, v16, v18, s[46:47]                   // 0000000070F0: D1000005 00BA2510
	v_perm_b32 v88, v5, v4, s52                                // 0000000070F8: D1ED0058 00D20905
	v_cmp_u_f32_e64 s[46:47], v122, v122                       // 000000007100: D048002E 0002F57A
	v_add3_u32 v16, v122, v19, 1                               // 000000007108: D1FF0010 0206277A
	v_cndmask_b32_e64 v4, v16, v18, s[46:47]                   // 000000007110: D1000004 00BA2510
	v_cmp_u_f32_e64 s[46:47], v123, v123                       // 000000007118: D048002E 0002F77B
	v_add3_u32 v16, v123, v19, 1                               // 000000007120: D1FF0010 0206277B
	v_cndmask_b32_e64 v5, v16, v18, s[46:47]                   // 000000007128: D1000005 00BA2510
	v_perm_b32 v89, v5, v4, s52                                // 000000007130: D1ED0059 00D20905
	v_cmp_u_f32_e64 s[46:47], v124, v124                       // 000000007138: D048002E 0002F97C
	v_add3_u32 v16, v124, v19, 1                               // 000000007140: D1FF0010 0206277C
	v_cndmask_b32_e64 v4, v16, v18, s[46:47]                   // 000000007148: D1000004 00BA2510
	v_cmp_u_f32_e64 s[46:47], v125, v125                       // 000000007150: D048002E 0002FB7D
	v_add3_u32 v16, v125, v19, 1                               // 000000007158: D1FF0010 0206277D
	v_cndmask_b32_e64 v5, v16, v18, s[46:47]                   // 000000007160: D1000005 00BA2510
	v_perm_b32 v90, v5, v4, s52                                // 000000007168: D1ED005A 00D20905
	v_cmp_u_f32_e64 s[46:47], v126, v126                       // 000000007170: D048002E 0002FD7E
	v_add3_u32 v16, v126, v19, 1                               // 000000007178: D1FF0010 0206277E
	v_cndmask_b32_e64 v4, v16, v18, s[46:47]                   // 000000007180: D1000004 00BA2510
	v_cmp_u_f32_e64 s[46:47], v127, v127                       // 000000007188: D048002E 0002FF7F
	v_add3_u32 v16, v127, v19, 1                               // 000000007190: D1FF0010 0206277F
	v_cndmask_b32_e64 v5, v16, v18, s[46:47]                   // 000000007198: D1000005 00BA2510
	v_perm_b32 v91, v5, v4, s52                                // 0000000071A0: D1ED005B 00D20905
	v_cmp_u_f32_e64 s[46:47], v128, v128                       // 0000000071A8: D048002E 00030180
	v_add3_u32 v16, v128, v19, 1                               // 0000000071B0: D1FF0010 02062780
	v_cndmask_b32_e64 v4, v16, v18, s[46:47]                   // 0000000071B8: D1000004 00BA2510
	v_cmp_u_f32_e64 s[46:47], v129, v129                       // 0000000071C0: D048002E 00030381
	v_add3_u32 v16, v129, v19, 1                               // 0000000071C8: D1FF0010 02062781
	v_cndmask_b32_e64 v5, v16, v18, s[46:47]                   // 0000000071D0: D1000005 00BA2510
	v_perm_b32 v92, v5, v4, s52                                // 0000000071D8: D1ED005C 00D20905
	v_cmp_u_f32_e64 s[46:47], v130, v130                       // 0000000071E0: D048002E 00030582
	v_add3_u32 v16, v130, v19, 1                               // 0000000071E8: D1FF0010 02062782
	v_cndmask_b32_e64 v4, v16, v18, s[46:47]                   // 0000000071F0: D1000004 00BA2510
	v_cmp_u_f32_e64 s[46:47], v131, v131                       // 0000000071F8: D048002E 00030783
	v_add3_u32 v16, v131, v19, 1                               // 000000007200: D1FF0010 02062783
	v_cndmask_b32_e64 v5, v16, v18, s[46:47]                   // 000000007208: D1000005 00BA2510
	v_perm_b32 v93, v5, v4, s52                                // 000000007210: D1ED005D 00D20905
	v_cmp_u_f32_e64 s[46:47], v132, v132                       // 000000007218: D048002E 00030984
	v_add3_u32 v16, v132, v19, 1                               // 000000007220: D1FF0010 02062784
	v_cndmask_b32_e64 v4, v16, v18, s[46:47]                   // 000000007228: D1000004 00BA2510
	v_cmp_u_f32_e64 s[46:47], v133, v133                       // 000000007230: D048002E 00030B85
	v_add3_u32 v16, v133, v19, 1                               // 000000007238: D1FF0010 02062785
	v_cndmask_b32_e64 v5, v16, v18, s[46:47]                   // 000000007240: D1000005 00BA2510
	v_perm_b32 v94, v5, v4, s52                                // 000000007248: D1ED005E 00D20905
	v_cmp_u_f32_e64 s[46:47], v134, v134                       // 000000007250: D048002E 00030D86
	v_add3_u32 v16, v134, v19, 1                               // 000000007258: D1FF0010 02062786
	v_cndmask_b32_e64 v4, v16, v18, s[46:47]                   // 000000007260: D1000004 00BA2510
	v_cmp_u_f32_e64 s[46:47], v135, v135                       // 000000007268: D048002E 00030F87
	v_add3_u32 v16, v135, v19, 1                               // 000000007270: D1FF0010 02062787
	v_cndmask_b32_e64 v5, v16, v18, s[46:47]                   // 000000007278: D1000005 00BA2510
	v_perm_b32 v95, v5, v4, s52                                // 000000007280: D1ED005F 00D20905
	v_cmp_u_f32_e64 s[46:47], v136, v136                       // 000000007288: D048002E 00031188
	v_add3_u32 v16, v136, v19, 1                               // 000000007290: D1FF0010 02062788
	v_cndmask_b32_e64 v4, v16, v18, s[46:47]                   // 000000007298: D1000004 00BA2510
	v_cmp_u_f32_e64 s[46:47], v137, v137                       // 0000000072A0: D048002E 00031389
	v_add3_u32 v16, v137, v19, 1                               // 0000000072A8: D1FF0010 02062789
	v_cndmask_b32_e64 v5, v16, v18, s[46:47]                   // 0000000072B0: D1000005 00BA2510
	v_perm_b32 v96, v5, v4, s52                                // 0000000072B8: D1ED0060 00D20905
	v_cmp_u_f32_e64 s[46:47], v138, v138                       // 0000000072C0: D048002E 0003158A
	v_add3_u32 v16, v138, v19, 1                               // 0000000072C8: D1FF0010 0206278A
	v_cndmask_b32_e64 v4, v16, v18, s[46:47]                   // 0000000072D0: D1000004 00BA2510
	v_cmp_u_f32_e64 s[46:47], v139, v139                       // 0000000072D8: D048002E 0003178B
	v_add3_u32 v16, v139, v19, 1                               // 0000000072E0: D1FF0010 0206278B
	v_cndmask_b32_e64 v5, v16, v18, s[46:47]                   // 0000000072E8: D1000005 00BA2510
	v_perm_b32 v97, v5, v4, s52                                // 0000000072F0: D1ED0061 00D20905
	v_cmp_u_f32_e64 s[46:47], v140, v140                       // 0000000072F8: D048002E 0003198C
	v_add3_u32 v16, v140, v19, 1                               // 000000007300: D1FF0010 0206278C
	v_cndmask_b32_e64 v4, v16, v18, s[46:47]                   // 000000007308: D1000004 00BA2510
	v_cmp_u_f32_e64 s[46:47], v141, v141                       // 000000007310: D048002E 00031B8D
	v_add3_u32 v16, v141, v19, 1                               // 000000007318: D1FF0010 0206278D
	v_cndmask_b32_e64 v5, v16, v18, s[46:47]                   // 000000007320: D1000005 00BA2510
	v_perm_b32 v98, v5, v4, s52                                // 000000007328: D1ED0062 00D20905
	v_cmp_u_f32_e64 s[46:47], v142, v142                       // 000000007330: D048002E 00031D8E
	v_add3_u32 v16, v142, v19, 1                               // 000000007338: D1FF0010 0206278E
	v_cndmask_b32_e64 v4, v16, v18, s[46:47]                   // 000000007340: D1000004 00BA2510
	v_cmp_u_f32_e64 s[46:47], v143, v143                       // 000000007348: D048002E 00031F8F
	v_add3_u32 v16, v143, v19, 1                               // 000000007350: D1FF0010 0206278F
	v_cndmask_b32_e64 v5, v16, v18, s[46:47]                   // 000000007358: D1000005 00BA2510
	v_perm_b32 v99, v5, v4, s52                                // 000000007360: D1ED0063 00D20905
	v_cmp_u_f32_e64 s[46:47], v144, v144                       // 000000007368: D048002E 00032190
	v_add3_u32 v16, v144, v19, 1                               // 000000007370: D1FF0010 02062790
	v_cndmask_b32_e64 v4, v16, v18, s[46:47]                   // 000000007378: D1000004 00BA2510
	v_cmp_u_f32_e64 s[46:47], v145, v145                       // 000000007380: D048002E 00032391
	v_add3_u32 v16, v145, v19, 1                               // 000000007388: D1FF0010 02062791
	v_cndmask_b32_e64 v5, v16, v18, s[46:47]                   // 000000007390: D1000005 00BA2510
	v_perm_b32 v100, v5, v4, s52                               // 000000007398: D1ED0064 00D20905
	v_cmp_u_f32_e64 s[46:47], v146, v146                       // 0000000073A0: D048002E 00032592
	v_add3_u32 v16, v146, v19, 1                               // 0000000073A8: D1FF0010 02062792
	v_cndmask_b32_e64 v4, v16, v18, s[46:47]                   // 0000000073B0: D1000004 00BA2510
	v_cmp_u_f32_e64 s[46:47], v147, v147                       // 0000000073B8: D048002E 00032793
	v_add3_u32 v16, v147, v19, 1                               // 0000000073C0: D1FF0010 02062793
	v_cndmask_b32_e64 v5, v16, v18, s[46:47]                   // 0000000073C8: D1000005 00BA2510
	v_perm_b32 v101, v5, v4, s52                               // 0000000073D0: D1ED0065 00D20905
	v_cmp_u_f32_e64 s[46:47], v148, v148                       // 0000000073D8: D048002E 00032994
	v_add3_u32 v16, v148, v19, 1                               // 0000000073E0: D1FF0010 02062794
	v_cndmask_b32_e64 v4, v16, v18, s[46:47]                   // 0000000073E8: D1000004 00BA2510
	v_cmp_u_f32_e64 s[46:47], v149, v149                       // 0000000073F0: D048002E 00032B95
	v_add3_u32 v16, v149, v19, 1                               // 0000000073F8: D1FF0010 02062795
	v_cndmask_b32_e64 v5, v16, v18, s[46:47]                   // 000000007400: D1000005 00BA2510
	v_perm_b32 v102, v5, v4, s52                               // 000000007408: D1ED0066 00D20905
	v_cmp_u_f32_e64 s[46:47], v150, v150                       // 000000007410: D048002E 00032D96
	v_add3_u32 v16, v150, v19, 1                               // 000000007418: D1FF0010 02062796
	v_cndmask_b32_e64 v4, v16, v18, s[46:47]                   // 000000007420: D1000004 00BA2510
	v_cmp_u_f32_e64 s[46:47], v151, v151                       // 000000007428: D048002E 00032F97
	v_add3_u32 v16, v151, v19, 1                               // 000000007430: D1FF0010 02062797
	v_cndmask_b32_e64 v5, v16, v18, s[46:47]                   // 000000007438: D1000005 00BA2510
	v_perm_b32 v103, v5, v4, s52                               // 000000007440: D1ED0067 00D20905
	ds_write_b64 v20, v[56:57]                                 // 000000007448: D89A0000 00003814
	ds_write_b64 v20, v[58:59] offset:17408                    // 000000007450: D89A4400 00003A14
	ds_write_b64 v20, v[60:61] offset:34816                    // 000000007458: D89A8800 00003C14
	ds_write_b64 v20, v[62:63] offset:2176                     // 000000007460: D89A0880 00003E14
	ds_write_b64 v20, v[64:65] offset:19584                    // 000000007468: D89A4C80 00004014
	ds_write_b64 v20, v[66:67] offset:36992                    // 000000007470: D89A9080 00004214
	ds_write_b64 v20, v[68:69] offset:4352                     // 000000007478: D89A1100 00004414
	ds_write_b64 v20, v[70:71] offset:21760                    // 000000007480: D89A5500 00004614
	ds_write_b64 v20, v[72:73] offset:39168                    // 000000007488: D89A9900 00004814
	ds_write_b64 v20, v[74:75] offset:6528                     // 000000007490: D89A1980 00004A14
	ds_write_b64 v20, v[76:77] offset:23936                    // 000000007498: D89A5D80 00004C14
	ds_write_b64 v20, v[78:79] offset:41344                    // 0000000074A0: D89AA180 00004E14
	ds_write_b64 v20, v[80:81] offset:8704                     // 0000000074A8: D89A2200 00005014
	ds_write_b64 v20, v[82:83] offset:26112                    // 0000000074B0: D89A6600 00005214
	ds_write_b64 v20, v[84:85] offset:43520                    // 0000000074B8: D89AAA00 00005414
	ds_write_b64 v20, v[86:87] offset:10880                    // 0000000074C0: D89A2A80 00005614
	ds_write_b64 v20, v[88:89] offset:28288                    // 0000000074C8: D89A6E80 00005814
	ds_write_b64 v20, v[90:91] offset:45696                    // 0000000074D0: D89AB280 00005A14
	ds_write_b64 v20, v[92:93] offset:13056                    // 0000000074D8: D89A3300 00005C14
	ds_write_b64 v20, v[94:95] offset:30464                    // 0000000074E0: D89A7700 00005E14
	ds_write_b64 v20, v[96:97] offset:47872                    // 0000000074E8: D89ABB00 00006014
	ds_write_b64 v20, v[98:99] offset:15232                    // 0000000074F0: D89A3B80 00006214
	ds_write_b64 v20, v[100:101] offset:32640                  // 0000000074F8: D89A7F80 00006414
	ds_write_b64 v20, v[102:103] offset:50048                  // 000000007500: D89AC380 00006614
	v_lshrrev_b32_e32 v4, 5, v0                                // 000000007508: 20080085
	v_xor_b32_e32 v5, 1, v4                                    // 00000000750C: 2A0A0881
	s_mul_i32 s60, s65, 2                                      // 000000007510: 923C8241
	s_cmp_eq_u32 s88, 0                                        // 000000007514: BF068058
	s_cselect_b32 s61, 1, 4                                    // 000000007518: 853D8481
	s_mul_i32 s60, s61, s60                                    // 00000000751C: 923C3C3D
	v_readlane_b32 s82, v3, 0                                  // 000000007520: D2890052 00010103
	s_lshr_b32 s61, s82, 24                                    // 000000007528: 8F3D9852
	s_and_b32 s82, s82, 0xffffff                               // 00000000752C: 8652FF52 00FFFFFF
	s_mul_i32 s82, s82, s71                                    // 000000007534: 92524752
	s_mul_i32 s61, s60, s61                                    // 000000007538: 923D3D3C
	s_add_u32 s82, s82, s61                                    // 00000000753C: 80523D52
	v_mul_lo_u32 v6, v5, s82                                   // 000000007540: D2850006 0000A505
	v_readlane_b32 s82, v3, 1                                  // 000000007548: D2890052 00010303
	s_lshr_b32 s61, s82, 24                                    // 000000007550: 8F3D9852
	s_and_b32 s82, s82, 0xffffff                               // 000000007554: 8652FF52 00FFFFFF
	s_mul_i32 s82, s82, s71                                    // 00000000755C: 92524752
	s_mul_i32 s61, s60, s61                                    // 000000007560: 923D3D3C
	s_add_u32 s82, s82, s61                                    // 000000007564: 80523D52
	v_mul_lo_u32 v7, v4, s82                                   // 000000007568: D2850007 0000A504
	v_add_u32_e32 v41, v6, v7                                  // 000000007570: 68520F06
	v_readlane_b32 s82, v3, 2                                  // 000000007574: D2890052 00010503
	s_lshr_b32 s61, s82, 24                                    // 00000000757C: 8F3D9852
	s_and_b32 s82, s82, 0xffffff                               // 000000007580: 8652FF52 00FFFFFF
	s_mul_i32 s82, s82, s71                                    // 000000007588: 92524752
	s_mul_i32 s61, s60, s61                                    // 00000000758C: 923D3D3C
	s_add_u32 s82, s82, s61                                    // 000000007590: 80523D52
	v_mul_lo_u32 v6, v5, s82                                   // 000000007594: D2850006 0000A505
	v_readlane_b32 s82, v3, 3                                  // 00000000759C: D2890052 00010703
	s_lshr_b32 s61, s82, 24                                    // 0000000075A4: 8F3D9852
	s_and_b32 s82, s82, 0xffffff                               // 0000000075A8: 8652FF52 00FFFFFF
	s_mul_i32 s82, s82, s71                                    // 0000000075B0: 92524752
	s_mul_i32 s61, s60, s61                                    // 0000000075B4: 923D3D3C
	s_add_u32 s82, s82, s61                                    // 0000000075B8: 80523D52
	v_mul_lo_u32 v7, v4, s82                                   // 0000000075BC: D2850007 0000A504
	v_add_u32_e32 v42, v6, v7                                  // 0000000075C4: 68540F06
	v_readlane_b32 s82, v3, 4                                  // 0000000075C8: D2890052 00010903
	s_lshr_b32 s61, s82, 24                                    // 0000000075D0: 8F3D9852
	s_and_b32 s82, s82, 0xffffff                               // 0000000075D4: 8652FF52 00FFFFFF
	s_mul_i32 s82, s82, s71                                    // 0000000075DC: 92524752
	s_mul_i32 s61, s60, s61                                    // 0000000075E0: 923D3D3C
	s_add_u32 s82, s82, s61                                    // 0000000075E4: 80523D52
	v_mul_lo_u32 v6, v5, s82                                   // 0000000075E8: D2850006 0000A505
	v_readlane_b32 s82, v3, 5                                  // 0000000075F0: D2890052 00010B03
	s_lshr_b32 s61, s82, 24                                    // 0000000075F8: 8F3D9852
	s_and_b32 s82, s82, 0xffffff                               // 0000000075FC: 8652FF52 00FFFFFF
	s_mul_i32 s82, s82, s71                                    // 000000007604: 92524752
	s_mul_i32 s61, s60, s61                                    // 000000007608: 923D3D3C
	s_add_u32 s82, s82, s61                                    // 00000000760C: 80523D52
	v_mul_lo_u32 v7, v4, s82                                   // 000000007610: D2850007 0000A504
	v_add_u32_e32 v43, v6, v7                                  // 000000007618: 68560F06
	v_readlane_b32 s82, v3, 6                                  // 00000000761C: D2890052 00010D03
	s_lshr_b32 s61, s82, 24                                    // 000000007624: 8F3D9852
	s_and_b32 s82, s82, 0xffffff                               // 000000007628: 8652FF52 00FFFFFF
	s_mul_i32 s82, s82, s71                                    // 000000007630: 92524752
	s_mul_i32 s61, s60, s61                                    // 000000007634: 923D3D3C
	s_add_u32 s82, s82, s61                                    // 000000007638: 80523D52
	v_mul_lo_u32 v6, v5, s82                                   // 00000000763C: D2850006 0000A505
	v_readlane_b32 s82, v3, 7                                  // 000000007644: D2890052 00010F03
	s_lshr_b32 s61, s82, 24                                    // 00000000764C: 8F3D9852
	s_and_b32 s82, s82, 0xffffff                               // 000000007650: 8652FF52 00FFFFFF
	s_mul_i32 s82, s82, s71                                    // 000000007658: 92524752
	s_mul_i32 s61, s60, s61                                    // 00000000765C: 923D3D3C
	s_add_u32 s82, s82, s61                                    // 000000007660: 80523D52
	v_mul_lo_u32 v7, v4, s82                                   // 000000007664: D2850007 0000A504
	v_add_u32_e32 v44, v6, v7                                  // 00000000766C: 68580F06
	v_readlane_b32 s82, v3, 8                                  // 000000007670: D2890052 00011103
	s_lshr_b32 s61, s82, 24                                    // 000000007678: 8F3D9852
	s_and_b32 s82, s82, 0xffffff                               // 00000000767C: 8652FF52 00FFFFFF
	s_mul_i32 s82, s82, s71                                    // 000000007684: 92524752
	s_mul_i32 s61, s60, s61                                    // 000000007688: 923D3D3C
	s_add_u32 s82, s82, s61                                    // 00000000768C: 80523D52
	v_mul_lo_u32 v6, v5, s82                                   // 000000007690: D2850006 0000A505
	v_readlane_b32 s82, v3, 9                                  // 000000007698: D2890052 00011303
	s_lshr_b32 s61, s82, 24                                    // 0000000076A0: 8F3D9852
	s_and_b32 s82, s82, 0xffffff                               // 0000000076A4: 8652FF52 00FFFFFF
	s_mul_i32 s82, s82, s71                                    // 0000000076AC: 92524752
	s_mul_i32 s61, s60, s61                                    // 0000000076B0: 923D3D3C
	s_add_u32 s82, s82, s61                                    // 0000000076B4: 80523D52
	v_mul_lo_u32 v7, v4, s82                                   // 0000000076B8: D2850007 0000A504
	v_add_u32_e32 v45, v6, v7                                  // 0000000076C0: 685A0F06
	v_readlane_b32 s82, v3, 10                                 // 0000000076C4: D2890052 00011503
	s_lshr_b32 s61, s82, 24                                    // 0000000076CC: 8F3D9852
	s_and_b32 s82, s82, 0xffffff                               // 0000000076D0: 8652FF52 00FFFFFF
	s_mul_i32 s82, s82, s71                                    // 0000000076D8: 92524752
	s_mul_i32 s61, s60, s61                                    // 0000000076DC: 923D3D3C
	s_add_u32 s82, s82, s61                                    // 0000000076E0: 80523D52
	v_mul_lo_u32 v6, v5, s82                                   // 0000000076E4: D2850006 0000A505
	v_readlane_b32 s82, v3, 11                                 // 0000000076EC: D2890052 00011703
	s_lshr_b32 s61, s82, 24                                    // 0000000076F4: 8F3D9852
	s_and_b32 s82, s82, 0xffffff                               // 0000000076F8: 8652FF52 00FFFFFF
	s_mul_i32 s82, s82, s71                                    // 000000007700: 92524752
	s_mul_i32 s61, s60, s61                                    // 000000007704: 923D3D3C
	s_add_u32 s82, s82, s61                                    // 000000007708: 80523D52
	v_mul_lo_u32 v7, v4, s82                                   // 00000000770C: D2850007 0000A504
	v_add_u32_e32 v46, v6, v7                                  // 000000007714: 685C0F06
	v_and_b32_e32 v4, 31, v0                                   // 000000007718: 2608009F
	v_lshrrev_b32_e32 v4, 1, v4                                // 00000000771C: 20080881
	s_cmp_eq_u32 s88, 0                                        // 000000007720: BF068058
	s_cselect_b32 s61, 2, 4                                    // 000000007724: 853D8482
	v_mul_lo_u32 v4, v4, s61                                   // 000000007728: D2850004 00007B04
	v_and_b32_e64 v5, v0, 1                                    // 000000007730: D1130005 00010300
	v_add_u32_e32 v4, v4, v5                                   // 000000007738: 68080B04
	v_lshlrev_b32_e32 v4, 2, v4                                // 00000000773C: 24080882
	v_add_u32_e32 v41, v41, v4                                 // 000000007740: 68520929
	v_add_u32_e32 v42, v42, v4                                 // 000000007744: 6854092A
	v_add_u32_e32 v43, v43, v4                                 // 000000007748: 6856092B
	v_add_u32_e32 v44, v44, v4                                 // 00000000774C: 6858092C
	v_add_u32_e32 v45, v45, v4                                 // 000000007750: 685A092D
	v_add_u32_e32 v46, v46, v4                                 // 000000007754: 685C092E
	s_waitcnt lgkmcnt(0)                                       // 000000007758: BF8CC07F
	s_barrier                                                  // 00000000775C: BF8A0000
	ds_read_b32 v56, v21                                       // 000000007760: D86C0000 38000015
	ds_read_b32 v57, v21 offset:64                             // 000000007768: D86C0040 39000015
	ds_read_b32 v58, v21 offset:2176                           // 000000007770: D86C0880 3A000015
	ds_read_b32 v59, v21 offset:2240                           // 000000007778: D86C08C0 3B000015
	ds_read_b32 v60, v21 offset:4352                           // 000000007780: D86C1100 3C000015
	ds_read_b32 v61, v21 offset:4416                           // 000000007788: D86C1140 3D000015
	ds_read_b32 v62, v21 offset:6528                           // 000000007790: D86C1980 3E000015
	ds_read_b32 v63, v21 offset:6592                           // 000000007798: D86C19C0 3F000015
	ds_read_b32 v64, v21 offset:8704                           // 0000000077A0: D86C2200 40000015
	ds_read_b32 v65, v21 offset:8768                           // 0000000077A8: D86C2240 41000015
	ds_read_b32 v66, v21 offset:10880                          // 0000000077B0: D86C2A80 42000015
	ds_read_b32 v67, v21 offset:10944                          // 0000000077B8: D86C2AC0 43000015
	ds_read_b32 v68, v21 offset:13056                          // 0000000077C0: D86C3300 44000015
	ds_read_b32 v69, v21 offset:13120                          // 0000000077C8: D86C3340 45000015
	ds_read_b32 v70, v21 offset:15232                          // 0000000077D0: D86C3B80 46000015
	ds_read_b32 v71, v21 offset:15296                          // 0000000077D8: D86C3BC0 47000015
	ds_read_b32 v72, v21 offset:17408                          // 0000000077E0: D86C4400 48000015
	ds_read_b32 v73, v21 offset:17472                          // 0000000077E8: D86C4440 49000015
	ds_read_b32 v74, v21 offset:19584                          // 0000000077F0: D86C4C80 4A000015
	ds_read_b32 v75, v21 offset:19648                          // 0000000077F8: D86C4CC0 4B000015
	ds_read_b32 v76, v21 offset:21760                          // 000000007800: D86C5500 4C000015
	ds_read_b32 v77, v21 offset:21824                          // 000000007808: D86C5540 4D000015
	ds_read_b32 v78, v21 offset:23936                          // 000000007810: D86C5D80 4E000015
	ds_read_b32 v79, v21 offset:24000                          // 000000007818: D86C5DC0 4F000015
	ds_read_b32 v80, v21 offset:26112                          // 000000007820: D86C6600 50000015
	ds_read_b32 v81, v21 offset:26176                          // 000000007828: D86C6640 51000015
	ds_read_b32 v82, v21 offset:28288                          // 000000007830: D86C6E80 52000015
	ds_read_b32 v83, v21 offset:28352                          // 000000007838: D86C6EC0 53000015
	ds_read_b32 v84, v21 offset:30464                          // 000000007840: D86C7700 54000015
	ds_read_b32 v85, v21 offset:30528                          // 000000007848: D86C7740 55000015
	ds_read_b32 v86, v21 offset:32640                          // 000000007850: D86C7F80 56000015
	ds_read_b32 v87, v21 offset:32704                          // 000000007858: D86C7FC0 57000015
	ds_read_b32 v88, v21 offset:34816                          // 000000007860: D86C8800 58000015
	ds_read_b32 v89, v21 offset:34880                          // 000000007868: D86C8840 59000015
	ds_read_b32 v90, v21 offset:36992                          // 000000007870: D86C9080 5A000015
	ds_read_b32 v91, v21 offset:37056                          // 000000007878: D86C90C0 5B000015
	ds_read_b32 v92, v21 offset:39168                          // 000000007880: D86C9900 5C000015
	ds_read_b32 v93, v21 offset:39232                          // 000000007888: D86C9940 5D000015
	ds_read_b32 v94, v21 offset:41344                          // 000000007890: D86CA180 5E000015
	ds_read_b32 v95, v21 offset:41408                          // 000000007898: D86CA1C0 5F000015
	ds_read_b32 v96, v21 offset:43520                          // 0000000078A0: D86CAA00 60000015
	ds_read_b32 v97, v21 offset:43584                          // 0000000078A8: D86CAA40 61000015
	ds_read_b32 v98, v21 offset:45696                          // 0000000078B0: D86CB280 62000015
	ds_read_b32 v99, v21 offset:45760                          // 0000000078B8: D86CB2C0 63000015
	ds_read_b32 v100, v21 offset:47872                         // 0000000078C0: D86CBB00 64000015
	ds_read_b32 v101, v21 offset:47936                         // 0000000078C8: D86CBB40 65000015
	ds_read_b32 v102, v21 offset:50048                         // 0000000078D0: D86CC380 66000015
	ds_read_b32 v103, v21 offset:50112                         // 0000000078D8: D86CC3C0 67000015
	s_waitcnt lgkmcnt(0)                                       // 0000000078E0: BF8CC07F
	s_mov_b32 s36, -1                                          // 0000000078E4: BEA400C1
	s_mov_b32 s37, -1                                          // 0000000078E8: BEA500C1
	v_mov_b32_e32 v7, 0                                        // 0000000078EC: 7E0E0280
	s_or_b32 s9, s9, 0x40000                                   // 0000000078F0: 8709FF09 00040000
	s_mov_b64 exec, s[36:37]                                   // 0000000078F8: BEFE0124
	v_mov_b32_e32 v6, v41                                      // 0000000078FC: 7E0C0329
	s_mov_b64 s[60:61], 0                                      // 000000007900: BEBC0180
	v_readlane_b32 s82, v3, 0                                  // 000000007904: D2890052 00010103
	s_and_b32 s82, s82, 0xffffff                               // 00000000790C: 8652FF52 00FFFFFF
	s_cmp_lt_u32 s82, s66                                      // 000000007914: BF0A4252
	s_cselect_b32 s20, s36, s60                                // 000000007918: 85143C24
	v_readlane_b32 s82, v3, 1                                  // 00000000791C: D2890052 00010303
	s_and_b32 s82, s82, 0xffffff                               // 000000007924: 8652FF52 00FFFFFF
	s_cmp_lt_u32 s82, s66                                      // 00000000792C: BF0A4252
	s_cselect_b32 s21, s36, s60                                // 000000007930: 85153C24
	s_mov_b64 exec, s[20:21]                                   // 000000007934: BEFE0114
	buffer_store_dword v56, v6, s[8:11], 0 offen               // 000000007938: E0701000 80023806
	buffer_store_dword v58, v6, s[8:11], 0 offen offset:128    // 000000007940: E0701080 80023A06
	buffer_store_dword v60, v6, s[8:11], 0 offen offset:256    // 000000007948: E0701100 80023C06
	buffer_store_dword v62, v6, s[8:11], 0 offen offset:384    // 000000007950: E0701180 80023E06
	buffer_store_dword v64, v6, s[8:11], 0 offen offset:512    // 000000007958: E0701200 80024006
	buffer_store_dword v66, v6, s[8:11], 0 offen offset:640    // 000000007960: E0701280 80024206
	buffer_store_dword v68, v6, s[8:11], 0 offen offset:768    // 000000007968: E0701300 80024406
	buffer_store_dword v70, v6, s[8:11], 0 offen offset:896    // 000000007970: E0701380 80024606
	s_mov_b64 exec, s[36:37]                                   // 000000007978: BEFE0124
	v_mov_b32_e32 v6, v42                                      // 00000000797C: 7E0C032A
	s_mov_b64 s[60:61], 0                                      // 000000007980: BEBC0180
	v_readlane_b32 s82, v3, 2                                  // 000000007984: D2890052 00010503
	s_and_b32 s82, s82, 0xffffff                               // 00000000798C: 8652FF52 00FFFFFF
	s_cmp_lt_u32 s82, s66                                      // 000000007994: BF0A4252
	s_cselect_b32 s20, s36, s60                                // 000000007998: 85143C24
	v_readlane_b32 s82, v3, 3                                  // 00000000799C: D2890052 00010703
	s_and_b32 s82, s82, 0xffffff                               // 0000000079A4: 8652FF52 00FFFFFF
	s_cmp_lt_u32 s82, s66                                      // 0000000079AC: BF0A4252
	s_cselect_b32 s21, s36, s60                                // 0000000079B0: 85153C24
	s_mov_b64 exec, s[20:21]                                   // 0000000079B4: BEFE0114
	buffer_store_dword v57, v6, s[8:11], 0 offen               // 0000000079B8: E0701000 80023906
	buffer_store_dword v59, v6, s[8:11], 0 offen offset:128    // 0000000079C0: E0701080 80023B06
	buffer_store_dword v61, v6, s[8:11], 0 offen offset:256    // 0000000079C8: E0701100 80023D06
	buffer_store_dword v63, v6, s[8:11], 0 offen offset:384    // 0000000079D0: E0701180 80023F06
	buffer_store_dword v65, v6, s[8:11], 0 offen offset:512    // 0000000079D8: E0701200 80024106
	buffer_store_dword v67, v6, s[8:11], 0 offen offset:640    // 0000000079E0: E0701280 80024306
	buffer_store_dword v69, v6, s[8:11], 0 offen offset:768    // 0000000079E8: E0701300 80024506
	buffer_store_dword v71, v6, s[8:11], 0 offen offset:896    // 0000000079F0: E0701380 80024706
	s_mov_b64 exec, s[36:37]                                   // 0000000079F8: BEFE0124
	v_mov_b32_e32 v6, v43                                      // 0000000079FC: 7E0C032B
	s_mov_b64 s[60:61], 0                                      // 000000007A00: BEBC0180
	v_readlane_b32 s82, v3, 4                                  // 000000007A04: D2890052 00010903
	s_and_b32 s82, s82, 0xffffff                               // 000000007A0C: 8652FF52 00FFFFFF
	s_cmp_lt_u32 s82, s66                                      // 000000007A14: BF0A4252
	s_cselect_b32 s20, s36, s60                                // 000000007A18: 85143C24
	v_readlane_b32 s82, v3, 5                                  // 000000007A1C: D2890052 00010B03
	s_and_b32 s82, s82, 0xffffff                               // 000000007A24: 8652FF52 00FFFFFF
	s_cmp_lt_u32 s82, s66                                      // 000000007A2C: BF0A4252
	s_cselect_b32 s21, s36, s60                                // 000000007A30: 85153C24
	s_mov_b64 exec, s[20:21]                                   // 000000007A34: BEFE0114
	buffer_store_dword v72, v6, s[8:11], 0 offen               // 000000007A38: E0701000 80024806
	buffer_store_dword v74, v6, s[8:11], 0 offen offset:128    // 000000007A40: E0701080 80024A06
	buffer_store_dword v76, v6, s[8:11], 0 offen offset:256    // 000000007A48: E0701100 80024C06
	buffer_store_dword v78, v6, s[8:11], 0 offen offset:384    // 000000007A50: E0701180 80024E06
	buffer_store_dword v80, v6, s[8:11], 0 offen offset:512    // 000000007A58: E0701200 80025006
	buffer_store_dword v82, v6, s[8:11], 0 offen offset:640    // 000000007A60: E0701280 80025206
	buffer_store_dword v84, v6, s[8:11], 0 offen offset:768    // 000000007A68: E0701300 80025406
	buffer_store_dword v86, v6, s[8:11], 0 offen offset:896    // 000000007A70: E0701380 80025606
	s_mov_b64 exec, s[36:37]                                   // 000000007A78: BEFE0124
	v_mov_b32_e32 v6, v44                                      // 000000007A7C: 7E0C032C
	s_mov_b64 s[60:61], 0                                      // 000000007A80: BEBC0180
	v_readlane_b32 s82, v3, 6                                  // 000000007A84: D2890052 00010D03
	s_and_b32 s82, s82, 0xffffff                               // 000000007A8C: 8652FF52 00FFFFFF
	s_cmp_lt_u32 s82, s66                                      // 000000007A94: BF0A4252
	s_cselect_b32 s20, s36, s60                                // 000000007A98: 85143C24
	v_readlane_b32 s82, v3, 7                                  // 000000007A9C: D2890052 00010F03
	s_and_b32 s82, s82, 0xffffff                               // 000000007AA4: 8652FF52 00FFFFFF
	s_cmp_lt_u32 s82, s66                                      // 000000007AAC: BF0A4252
	s_cselect_b32 s21, s36, s60                                // 000000007AB0: 85153C24
	s_mov_b64 exec, s[20:21]                                   // 000000007AB4: BEFE0114
	buffer_store_dword v73, v6, s[8:11], 0 offen               // 000000007AB8: E0701000 80024906
	buffer_store_dword v75, v6, s[8:11], 0 offen offset:128    // 000000007AC0: E0701080 80024B06
	buffer_store_dword v77, v6, s[8:11], 0 offen offset:256    // 000000007AC8: E0701100 80024D06
	buffer_store_dword v79, v6, s[8:11], 0 offen offset:384    // 000000007AD0: E0701180 80024F06
	buffer_store_dword v81, v6, s[8:11], 0 offen offset:512    // 000000007AD8: E0701200 80025106
	buffer_store_dword v83, v6, s[8:11], 0 offen offset:640    // 000000007AE0: E0701280 80025306
	buffer_store_dword v85, v6, s[8:11], 0 offen offset:768    // 000000007AE8: E0701300 80025506
	buffer_store_dword v87, v6, s[8:11], 0 offen offset:896    // 000000007AF0: E0701380 80025706
	s_mov_b64 exec, s[36:37]                                   // 000000007AF8: BEFE0124
	v_mov_b32_e32 v6, v45                                      // 000000007AFC: 7E0C032D
	s_mov_b64 s[60:61], 0                                      // 000000007B00: BEBC0180
	v_readlane_b32 s82, v3, 8                                  // 000000007B04: D2890052 00011103
	s_and_b32 s82, s82, 0xffffff                               // 000000007B0C: 8652FF52 00FFFFFF
	s_cmp_lt_u32 s82, s66                                      // 000000007B14: BF0A4252
	s_cselect_b32 s20, s36, s60                                // 000000007B18: 85143C24
	v_readlane_b32 s82, v3, 9                                  // 000000007B1C: D2890052 00011303
	s_and_b32 s82, s82, 0xffffff                               // 000000007B24: 8652FF52 00FFFFFF
	s_cmp_lt_u32 s82, s66                                      // 000000007B2C: BF0A4252
	s_cselect_b32 s21, s36, s60                                // 000000007B30: 85153C24
	s_mov_b64 exec, s[20:21]                                   // 000000007B34: BEFE0114
	buffer_store_dword v88, v6, s[8:11], 0 offen               // 000000007B38: E0701000 80025806
	buffer_store_dword v90, v6, s[8:11], 0 offen offset:128    // 000000007B40: E0701080 80025A06
	buffer_store_dword v92, v6, s[8:11], 0 offen offset:256    // 000000007B48: E0701100 80025C06
	buffer_store_dword v94, v6, s[8:11], 0 offen offset:384    // 000000007B50: E0701180 80025E06
	buffer_store_dword v96, v6, s[8:11], 0 offen offset:512    // 000000007B58: E0701200 80026006
	buffer_store_dword v98, v6, s[8:11], 0 offen offset:640    // 000000007B60: E0701280 80026206
	buffer_store_dword v100, v6, s[8:11], 0 offen offset:768   // 000000007B68: E0701300 80026406
	buffer_store_dword v102, v6, s[8:11], 0 offen offset:896   // 000000007B70: E0701380 80026606
	s_mov_b64 exec, s[36:37]                                   // 000000007B78: BEFE0124
	v_mov_b32_e32 v6, v46                                      // 000000007B7C: 7E0C032E
	s_mov_b64 s[60:61], 0                                      // 000000007B80: BEBC0180
	v_readlane_b32 s82, v3, 10                                 // 000000007B84: D2890052 00011503
	s_and_b32 s82, s82, 0xffffff                               // 000000007B8C: 8652FF52 00FFFFFF
	s_cmp_lt_u32 s82, s66                                      // 000000007B94: BF0A4252
	s_cselect_b32 s20, s36, s60                                // 000000007B98: 85143C24
	v_readlane_b32 s82, v3, 11                                 // 000000007B9C: D2890052 00011703
	s_and_b32 s82, s82, 0xffffff                               // 000000007BA4: 8652FF52 00FFFFFF
	s_cmp_lt_u32 s82, s66                                      // 000000007BAC: BF0A4252
	s_cselect_b32 s21, s36, s60                                // 000000007BB0: 85153C24
	s_mov_b64 exec, s[20:21]                                   // 000000007BB4: BEFE0114
	buffer_store_dword v89, v6, s[8:11], 0 offen               // 000000007BB8: E0701000 80025906
	buffer_store_dword v91, v6, s[8:11], 0 offen offset:128    // 000000007BC0: E0701080 80025B06
	buffer_store_dword v93, v6, s[8:11], 0 offen offset:256    // 000000007BC8: E0701100 80025D06
	buffer_store_dword v95, v6, s[8:11], 0 offen offset:384    // 000000007BD0: E0701180 80025F06
	buffer_store_dword v97, v6, s[8:11], 0 offen offset:512    // 000000007BD8: E0701200 80026106
	buffer_store_dword v99, v6, s[8:11], 0 offen offset:640    // 000000007BE0: E0701280 80026306
	buffer_store_dword v101, v6, s[8:11], 0 offen offset:768   // 000000007BE8: E0701300 80026506
	buffer_store_dword v103, v6, s[8:11], 0 offen offset:896   // 000000007BF0: E0701380 80026706
	s_mov_b64 exec, s[36:37]                                   // 000000007BF8: BEFE0124
	s_branch label_3204                                        // 000000007BFC: BF821D81

0000000000007c00 <label_1480>:
	ds_write_b64 v20, v[56:57]                                 // 000000007C00: D89A0000 00003814
	ds_write_b64 v20, v[60:61] offset:17408                    // 000000007C08: D89A4400 00003C14
	ds_write_b64 v20, v[64:65] offset:34816                    // 000000007C10: D89A8800 00004014
	ds_write_b64 v20, v[68:69] offset:2176                     // 000000007C18: D89A0880 00004414
	ds_write_b64 v20, v[72:73] offset:19584                    // 000000007C20: D89A4C80 00004814
	ds_write_b64 v20, v[76:77] offset:36992                    // 000000007C28: D89A9080 00004C14
	ds_write_b64 v20, v[80:81] offset:4352                     // 000000007C30: D89A1100 00005014
	ds_write_b64 v20, v[84:85] offset:21760                    // 000000007C38: D89A5500 00005414
	ds_write_b64 v20, v[88:89] offset:39168                    // 000000007C40: D89A9900 00005814
	ds_write_b64 v20, v[92:93] offset:6528                     // 000000007C48: D89A1980 00005C14
	ds_write_b64 v20, v[96:97] offset:23936                    // 000000007C50: D89A5D80 00006014
	ds_write_b64 v20, v[100:101] offset:41344                  // 000000007C58: D89AA180 00006414
	ds_write_b64 v20, v[104:105] offset:8704                   // 000000007C60: D89A2200 00006814
	ds_write_b64 v20, v[108:109] offset:26112                  // 000000007C68: D89A6600 00006C14
	ds_write_b64 v20, v[112:113] offset:43520                  // 000000007C70: D89AAA00 00007014
	ds_write_b64 v20, v[116:117] offset:10880                  // 000000007C78: D89A2A80 00007414
	ds_write_b64 v20, v[120:121] offset:28288                  // 000000007C80: D89A6E80 00007814
	ds_write_b64 v20, v[124:125] offset:45696                  // 000000007C88: D89AB280 00007C14
	ds_write_b64 v20, v[128:129] offset:13056                  // 000000007C90: D89A3300 00008014
	ds_write_b64 v20, v[132:133] offset:30464                  // 000000007C98: D89A7700 00008414
	ds_write_b64 v20, v[136:137] offset:47872                  // 000000007CA0: D89ABB00 00008814
	ds_write_b64 v20, v[140:141] offset:15232                  // 000000007CA8: D89A3B80 00008C14
	ds_write_b64 v20, v[144:145] offset:32640                  // 000000007CB0: D89A7F80 00009014
	ds_write_b64 v20, v[148:149] offset:50048                  // 000000007CB8: D89AC380 00009414
	v_lshrrev_b32_e32 v4, 5, v0                                // 000000007CC0: 20080085
	v_xor_b32_e32 v5, 1, v4                                    // 000000007CC4: 2A0A0881
	s_mul_i32 s60, s65, 2                                      // 000000007CC8: 923C8241
	s_cmp_eq_u32 s88, 0                                        // 000000007CCC: BF068058
	s_cselect_b32 s61, 1, 4                                    // 000000007CD0: 853D8481
	s_mul_i32 s60, s61, s60                                    // 000000007CD4: 923C3C3D
	v_readlane_b32 s82, v3, 0                                  // 000000007CD8: D2890052 00010103
	s_lshr_b32 s61, s82, 24                                    // 000000007CE0: 8F3D9852
	s_and_b32 s82, s82, 0xffffff                               // 000000007CE4: 8652FF52 00FFFFFF
	s_mul_i32 s82, s82, s71                                    // 000000007CEC: 92524752
	s_mul_i32 s61, s60, s61                                    // 000000007CF0: 923D3D3C
	s_add_u32 s82, s82, s61                                    // 000000007CF4: 80523D52
	v_mul_lo_u32 v6, v5, s82                                   // 000000007CF8: D2850006 0000A505
	v_readlane_b32 s82, v3, 1                                  // 000000007D00: D2890052 00010303
	s_lshr_b32 s61, s82, 24                                    // 000000007D08: 8F3D9852
	s_and_b32 s82, s82, 0xffffff                               // 000000007D0C: 8652FF52 00FFFFFF
	s_mul_i32 s82, s82, s71                                    // 000000007D14: 92524752
	s_mul_i32 s61, s60, s61                                    // 000000007D18: 923D3D3C
	s_add_u32 s82, s82, s61                                    // 000000007D1C: 80523D52
	v_mul_lo_u32 v7, v4, s82                                   // 000000007D20: D2850007 0000A504
	v_add_u32_e32 v41, v6, v7                                  // 000000007D28: 68520F06
	v_readlane_b32 s82, v3, 2                                  // 000000007D2C: D2890052 00010503
	s_lshr_b32 s61, s82, 24                                    // 000000007D34: 8F3D9852
	s_and_b32 s82, s82, 0xffffff                               // 000000007D38: 8652FF52 00FFFFFF
	s_mul_i32 s82, s82, s71                                    // 000000007D40: 92524752
	s_mul_i32 s61, s60, s61                                    // 000000007D44: 923D3D3C
	s_add_u32 s82, s82, s61                                    // 000000007D48: 80523D52
	v_mul_lo_u32 v6, v5, s82                                   // 000000007D4C: D2850006 0000A505
	v_readlane_b32 s82, v3, 3                                  // 000000007D54: D2890052 00010703
	s_lshr_b32 s61, s82, 24                                    // 000000007D5C: 8F3D9852
	s_and_b32 s82, s82, 0xffffff                               // 000000007D60: 8652FF52 00FFFFFF
	s_mul_i32 s82, s82, s71                                    // 000000007D68: 92524752
	s_mul_i32 s61, s60, s61                                    // 000000007D6C: 923D3D3C
	s_add_u32 s82, s82, s61                                    // 000000007D70: 80523D52
	v_mul_lo_u32 v7, v4, s82                                   // 000000007D74: D2850007 0000A504
	v_add_u32_e32 v42, v6, v7                                  // 000000007D7C: 68540F06
	v_readlane_b32 s82, v3, 4                                  // 000000007D80: D2890052 00010903
	s_lshr_b32 s61, s82, 24                                    // 000000007D88: 8F3D9852
	s_and_b32 s82, s82, 0xffffff                               // 000000007D8C: 8652FF52 00FFFFFF
	s_mul_i32 s82, s82, s71                                    // 000000007D94: 92524752
	s_mul_i32 s61, s60, s61                                    // 000000007D98: 923D3D3C
	s_add_u32 s82, s82, s61                                    // 000000007D9C: 80523D52
	v_mul_lo_u32 v6, v5, s82                                   // 000000007DA0: D2850006 0000A505
	v_readlane_b32 s82, v3, 5                                  // 000000007DA8: D2890052 00010B03
	s_lshr_b32 s61, s82, 24                                    // 000000007DB0: 8F3D9852
	s_and_b32 s82, s82, 0xffffff                               // 000000007DB4: 8652FF52 00FFFFFF
	s_mul_i32 s82, s82, s71                                    // 000000007DBC: 92524752
	s_mul_i32 s61, s60, s61                                    // 000000007DC0: 923D3D3C
	s_add_u32 s82, s82, s61                                    // 000000007DC4: 80523D52
	v_mul_lo_u32 v7, v4, s82                                   // 000000007DC8: D2850007 0000A504
	v_add_u32_e32 v43, v6, v7                                  // 000000007DD0: 68560F06
	v_readlane_b32 s82, v3, 6                                  // 000000007DD4: D2890052 00010D03
	s_lshr_b32 s61, s82, 24                                    // 000000007DDC: 8F3D9852
	s_and_b32 s82, s82, 0xffffff                               // 000000007DE0: 8652FF52 00FFFFFF
	s_mul_i32 s82, s82, s71                                    // 000000007DE8: 92524752
	s_mul_i32 s61, s60, s61                                    // 000000007DEC: 923D3D3C
	s_add_u32 s82, s82, s61                                    // 000000007DF0: 80523D52
	v_mul_lo_u32 v6, v5, s82                                   // 000000007DF4: D2850006 0000A505
	v_readlane_b32 s82, v3, 7                                  // 000000007DFC: D2890052 00010F03
	s_lshr_b32 s61, s82, 24                                    // 000000007E04: 8F3D9852
	s_and_b32 s82, s82, 0xffffff                               // 000000007E08: 8652FF52 00FFFFFF
	s_mul_i32 s82, s82, s71                                    // 000000007E10: 92524752
	s_mul_i32 s61, s60, s61                                    // 000000007E14: 923D3D3C
	s_add_u32 s82, s82, s61                                    // 000000007E18: 80523D52
	v_mul_lo_u32 v7, v4, s82                                   // 000000007E1C: D2850007 0000A504
	v_add_u32_e32 v44, v6, v7                                  // 000000007E24: 68580F06
	v_readlane_b32 s82, v3, 8                                  // 000000007E28: D2890052 00011103
	s_lshr_b32 s61, s82, 24                                    // 000000007E30: 8F3D9852
	s_and_b32 s82, s82, 0xffffff                               // 000000007E34: 8652FF52 00FFFFFF
	s_mul_i32 s82, s82, s71                                    // 000000007E3C: 92524752
	s_mul_i32 s61, s60, s61                                    // 000000007E40: 923D3D3C
	s_add_u32 s82, s82, s61                                    // 000000007E44: 80523D52
	v_mul_lo_u32 v6, v5, s82                                   // 000000007E48: D2850006 0000A505
	v_readlane_b32 s82, v3, 9                                  // 000000007E50: D2890052 00011303
	s_lshr_b32 s61, s82, 24                                    // 000000007E58: 8F3D9852
	s_and_b32 s82, s82, 0xffffff                               // 000000007E5C: 8652FF52 00FFFFFF
	s_mul_i32 s82, s82, s71                                    // 000000007E64: 92524752
	s_mul_i32 s61, s60, s61                                    // 000000007E68: 923D3D3C
	s_add_u32 s82, s82, s61                                    // 000000007E6C: 80523D52
	v_mul_lo_u32 v7, v4, s82                                   // 000000007E70: D2850007 0000A504
	v_add_u32_e32 v45, v6, v7                                  // 000000007E78: 685A0F06
	v_readlane_b32 s82, v3, 10                                 // 000000007E7C: D2890052 00011503
	s_lshr_b32 s61, s82, 24                                    // 000000007E84: 8F3D9852
	s_and_b32 s82, s82, 0xffffff                               // 000000007E88: 8652FF52 00FFFFFF
	s_mul_i32 s82, s82, s71                                    // 000000007E90: 92524752
	s_mul_i32 s61, s60, s61                                    // 000000007E94: 923D3D3C
	s_add_u32 s82, s82, s61                                    // 000000007E98: 80523D52
	v_mul_lo_u32 v6, v5, s82                                   // 000000007E9C: D2850006 0000A505
	v_readlane_b32 s82, v3, 11                                 // 000000007EA4: D2890052 00011703
	s_lshr_b32 s61, s82, 24                                    // 000000007EAC: 8F3D9852
	s_and_b32 s82, s82, 0xffffff                               // 000000007EB0: 8652FF52 00FFFFFF
	s_mul_i32 s82, s82, s71                                    // 000000007EB8: 92524752
	s_mul_i32 s61, s60, s61                                    // 000000007EBC: 923D3D3C
	s_add_u32 s82, s82, s61                                    // 000000007EC0: 80523D52
	v_mul_lo_u32 v7, v4, s82                                   // 000000007EC4: D2850007 0000A504
	v_add_u32_e32 v46, v6, v7                                  // 000000007ECC: 685C0F06
	v_and_b32_e32 v4, 31, v0                                   // 000000007ED0: 2608009F
	v_lshrrev_b32_e32 v4, 1, v4                                // 000000007ED4: 20080881
	s_cmp_eq_u32 s88, 0                                        // 000000007ED8: BF068058
	s_cselect_b32 s61, 2, 4                                    // 000000007EDC: 853D8482
	v_mul_lo_u32 v4, v4, s61                                   // 000000007EE0: D2850004 00007B04
	v_and_b32_e64 v5, v0, 1                                    // 000000007EE8: D1130005 00010300
	v_add_u32_e32 v4, v4, v5                                   // 000000007EF0: 68080B04
	v_lshlrev_b32_e32 v4, 2, v4                                // 000000007EF4: 24080882
	v_add_u32_e32 v41, v41, v4                                 // 000000007EF8: 68520929
	v_add_u32_e32 v42, v42, v4                                 // 000000007EFC: 6854092A
	v_add_u32_e32 v43, v43, v4                                 // 000000007F00: 6856092B
	v_add_u32_e32 v44, v44, v4                                 // 000000007F04: 6858092C
	v_add_u32_e32 v45, v45, v4                                 // 000000007F08: 685A092D
	v_add_u32_e32 v46, v46, v4                                 // 000000007F0C: 685C092E
	s_waitcnt lgkmcnt(0)                                       // 000000007F10: BF8CC07F
	s_barrier                                                  // 000000007F14: BF8A0000
	ds_read_b32 v56, v21                                       // 000000007F18: D86C0000 38000015
	ds_read_b32 v57, v21 offset:64                             // 000000007F20: D86C0040 39000015
	ds_read_b32 v60, v21 offset:2176                           // 000000007F28: D86C0880 3C000015
	ds_read_b32 v61, v21 offset:2240                           // 000000007F30: D86C08C0 3D000015
	ds_read_b32 v64, v21 offset:4352                           // 000000007F38: D86C1100 40000015
	ds_read_b32 v65, v21 offset:4416                           // 000000007F40: D86C1140 41000015
	ds_read_b32 v68, v21 offset:6528                           // 000000007F48: D86C1980 44000015
	ds_read_b32 v69, v21 offset:6592                           // 000000007F50: D86C19C0 45000015
	ds_read_b32 v72, v21 offset:8704                           // 000000007F58: D86C2200 48000015
	ds_read_b32 v73, v21 offset:8768                           // 000000007F60: D86C2240 49000015
	ds_read_b32 v76, v21 offset:10880                          // 000000007F68: D86C2A80 4C000015
	ds_read_b32 v77, v21 offset:10944                          // 000000007F70: D86C2AC0 4D000015
	ds_read_b32 v80, v21 offset:13056                          // 000000007F78: D86C3300 50000015
	ds_read_b32 v81, v21 offset:13120                          // 000000007F80: D86C3340 51000015
	ds_read_b32 v84, v21 offset:15232                          // 000000007F88: D86C3B80 54000015
	ds_read_b32 v85, v21 offset:15296                          // 000000007F90: D86C3BC0 55000015
	ds_read_b32 v88, v21 offset:17408                          // 000000007F98: D86C4400 58000015
	ds_read_b32 v89, v21 offset:17472                          // 000000007FA0: D86C4440 59000015
	ds_read_b32 v92, v21 offset:19584                          // 000000007FA8: D86C4C80 5C000015
	ds_read_b32 v93, v21 offset:19648                          // 000000007FB0: D86C4CC0 5D000015
	ds_read_b32 v96, v21 offset:21760                          // 000000007FB8: D86C5500 60000015
	ds_read_b32 v97, v21 offset:21824                          // 000000007FC0: D86C5540 61000015
	ds_read_b32 v100, v21 offset:23936                         // 000000007FC8: D86C5D80 64000015
	ds_read_b32 v101, v21 offset:24000                         // 000000007FD0: D86C5DC0 65000015
	ds_read_b32 v104, v21 offset:26112                         // 000000007FD8: D86C6600 68000015
	ds_read_b32 v105, v21 offset:26176                         // 000000007FE0: D86C6640 69000015
	ds_read_b32 v108, v21 offset:28288                         // 000000007FE8: D86C6E80 6C000015
	ds_read_b32 v109, v21 offset:28352                         // 000000007FF0: D86C6EC0 6D000015
	ds_read_b32 v112, v21 offset:30464                         // 000000007FF8: D86C7700 70000015
	ds_read_b32 v113, v21 offset:30528                         // 000000008000: D86C7740 71000015
	ds_read_b32 v116, v21 offset:32640                         // 000000008008: D86C7F80 74000015
	ds_read_b32 v117, v21 offset:32704                         // 000000008010: D86C7FC0 75000015
	ds_read_b32 v120, v21 offset:34816                         // 000000008018: D86C8800 78000015
	ds_read_b32 v121, v21 offset:34880                         // 000000008020: D86C8840 79000015
	ds_read_b32 v124, v21 offset:36992                         // 000000008028: D86C9080 7C000015
	ds_read_b32 v125, v21 offset:37056                         // 000000008030: D86C90C0 7D000015
	ds_read_b32 v128, v21 offset:39168                         // 000000008038: D86C9900 80000015
	ds_read_b32 v129, v21 offset:39232                         // 000000008040: D86C9940 81000015
	ds_read_b32 v132, v21 offset:41344                         // 000000008048: D86CA180 84000015
	ds_read_b32 v133, v21 offset:41408                         // 000000008050: D86CA1C0 85000015
	ds_read_b32 v136, v21 offset:43520                         // 000000008058: D86CAA00 88000015
	ds_read_b32 v137, v21 offset:43584                         // 000000008060: D86CAA40 89000015
	ds_read_b32 v140, v21 offset:45696                         // 000000008068: D86CB280 8C000015
	ds_read_b32 v141, v21 offset:45760                         // 000000008070: D86CB2C0 8D000015
	ds_read_b32 v144, v21 offset:47872                         // 000000008078: D86CBB00 90000015
	ds_read_b32 v145, v21 offset:47936                         // 000000008080: D86CBB40 91000015
	ds_read_b32 v148, v21 offset:50048                         // 000000008088: D86CC380 94000015
	ds_read_b32 v149, v21 offset:50112                         // 000000008090: D86CC3C0 95000015
	s_waitcnt lgkmcnt(0)                                       // 000000008098: BF8CC07F
	s_mov_b32 s36, -1                                          // 00000000809C: BEA400C1
	s_mov_b32 s37, -1                                          // 0000000080A0: BEA500C1
	v_mov_b32_e32 v7, 0                                        // 0000000080A4: 7E0E0280
	s_mov_b64 exec, s[36:37]                                   // 0000000080A8: BEFE0124
	v_mov_b32_e32 v6, v41                                      // 0000000080AC: 7E0C0329
	s_mov_b64 s[60:61], 0                                      // 0000000080B0: BEBC0180
	v_readlane_b32 s82, v3, 0                                  // 0000000080B4: D2890052 00010103
	s_and_b32 s82, s82, 0xffffff                               // 0000000080BC: 8652FF52 00FFFFFF
	s_cmp_lt_u32 s82, s66                                      // 0000000080C4: BF0A4252
	s_cselect_b32 s20, s36, s60                                // 0000000080C8: 85143C24
	v_readlane_b32 s82, v3, 1                                  // 0000000080CC: D2890052 00010303
	s_and_b32 s82, s82, 0xffffff                               // 0000000080D4: 8652FF52 00FFFFFF
	s_cmp_lt_u32 s82, s66                                      // 0000000080DC: BF0A4252
	s_cselect_b32 s21, s36, s60                                // 0000000080E0: 85153C24
	s_mov_b64 exec, s[20:21]                                   // 0000000080E4: BEFE0114
	global_atomic_add_f32 v6, v56, s[8:9]                      // 0000000080E8: DD348000 00083806
	global_atomic_add_f32 v6, v60, s[8:9] offset:256           // 0000000080F0: DD348100 00083C06
	global_atomic_add_f32 v6, v64, s[8:9] offset:512           // 0000000080F8: DD348200 00084006
	global_atomic_add_f32 v6, v68, s[8:9] offset:768           // 000000008100: DD348300 00084406
	global_atomic_add_f32 v6, v72, s[8:9] offset:1024          // 000000008108: DD348400 00084806
	global_atomic_add_f32 v6, v76, s[8:9] offset:1280          // 000000008110: DD348500 00084C06
	global_atomic_add_f32 v6, v80, s[8:9] offset:1536          // 000000008118: DD348600 00085006
	global_atomic_add_f32 v6, v84, s[8:9] offset:1792          // 000000008120: DD348700 00085406
	s_mov_b64 exec, s[36:37]                                   // 000000008128: BEFE0124
	v_mov_b32_e32 v6, v42                                      // 00000000812C: 7E0C032A
	s_mov_b64 s[60:61], 0                                      // 000000008130: BEBC0180
	v_readlane_b32 s82, v3, 2                                  // 000000008134: D2890052 00010503
	s_and_b32 s82, s82, 0xffffff                               // 00000000813C: 8652FF52 00FFFFFF
	s_cmp_lt_u32 s82, s66                                      // 000000008144: BF0A4252
	s_cselect_b32 s20, s36, s60                                // 000000008148: 85143C24
	v_readlane_b32 s82, v3, 3                                  // 00000000814C: D2890052 00010703
	s_and_b32 s82, s82, 0xffffff                               // 000000008154: 8652FF52 00FFFFFF
	s_cmp_lt_u32 s82, s66                                      // 00000000815C: BF0A4252
	s_cselect_b32 s21, s36, s60                                // 000000008160: 85153C24
	s_mov_b64 exec, s[20:21]                                   // 000000008164: BEFE0114
	global_atomic_add_f32 v6, v57, s[8:9]                      // 000000008168: DD348000 00083906
	global_atomic_add_f32 v6, v61, s[8:9] offset:256           // 000000008170: DD348100 00083D06
	global_atomic_add_f32 v6, v65, s[8:9] offset:512           // 000000008178: DD348200 00084106
	global_atomic_add_f32 v6, v69, s[8:9] offset:768           // 000000008180: DD348300 00084506
	global_atomic_add_f32 v6, v73, s[8:9] offset:1024          // 000000008188: DD348400 00084906
	global_atomic_add_f32 v6, v77, s[8:9] offset:1280          // 000000008190: DD348500 00084D06
	global_atomic_add_f32 v6, v81, s[8:9] offset:1536          // 000000008198: DD348600 00085106
	global_atomic_add_f32 v6, v85, s[8:9] offset:1792          // 0000000081A0: DD348700 00085506
	s_mov_b64 exec, s[36:37]                                   // 0000000081A8: BEFE0124
	v_mov_b32_e32 v6, v43                                      // 0000000081AC: 7E0C032B
	s_mov_b64 s[60:61], 0                                      // 0000000081B0: BEBC0180
	v_readlane_b32 s82, v3, 4                                  // 0000000081B4: D2890052 00010903
	s_and_b32 s82, s82, 0xffffff                               // 0000000081BC: 8652FF52 00FFFFFF
	s_cmp_lt_u32 s82, s66                                      // 0000000081C4: BF0A4252
	s_cselect_b32 s20, s36, s60                                // 0000000081C8: 85143C24
	v_readlane_b32 s82, v3, 5                                  // 0000000081CC: D2890052 00010B03
	s_and_b32 s82, s82, 0xffffff                               // 0000000081D4: 8652FF52 00FFFFFF
	s_cmp_lt_u32 s82, s66                                      // 0000000081DC: BF0A4252
	s_cselect_b32 s21, s36, s60                                // 0000000081E0: 85153C24
	s_mov_b64 exec, s[20:21]                                   // 0000000081E4: BEFE0114
	global_atomic_add_f32 v6, v88, s[8:9]                      // 0000000081E8: DD348000 00085806
	global_atomic_add_f32 v6, v92, s[8:9] offset:256           // 0000000081F0: DD348100 00085C06
	global_atomic_add_f32 v6, v96, s[8:9] offset:512           // 0000000081F8: DD348200 00086006
	global_atomic_add_f32 v6, v100, s[8:9] offset:768          // 000000008200: DD348300 00086406
	global_atomic_add_f32 v6, v104, s[8:9] offset:1024         // 000000008208: DD348400 00086806
	global_atomic_add_f32 v6, v108, s[8:9] offset:1280         // 000000008210: DD348500 00086C06
	global_atomic_add_f32 v6, v112, s[8:9] offset:1536         // 000000008218: DD348600 00087006
	global_atomic_add_f32 v6, v116, s[8:9] offset:1792         // 000000008220: DD348700 00087406
	s_mov_b64 exec, s[36:37]                                   // 000000008228: BEFE0124
	v_mov_b32_e32 v6, v44                                      // 00000000822C: 7E0C032C
	s_mov_b64 s[60:61], 0                                      // 000000008230: BEBC0180
	v_readlane_b32 s82, v3, 6                                  // 000000008234: D2890052 00010D03
	s_and_b32 s82, s82, 0xffffff                               // 00000000823C: 8652FF52 00FFFFFF
	s_cmp_lt_u32 s82, s66                                      // 000000008244: BF0A4252
	s_cselect_b32 s20, s36, s60                                // 000000008248: 85143C24
	v_readlane_b32 s82, v3, 7                                  // 00000000824C: D2890052 00010F03
	s_and_b32 s82, s82, 0xffffff                               // 000000008254: 8652FF52 00FFFFFF
	s_cmp_lt_u32 s82, s66                                      // 00000000825C: BF0A4252
	s_cselect_b32 s21, s36, s60                                // 000000008260: 85153C24
	s_mov_b64 exec, s[20:21]                                   // 000000008264: BEFE0114
	global_atomic_add_f32 v6, v89, s[8:9]                      // 000000008268: DD348000 00085906
	global_atomic_add_f32 v6, v93, s[8:9] offset:256           // 000000008270: DD348100 00085D06
	global_atomic_add_f32 v6, v97, s[8:9] offset:512           // 000000008278: DD348200 00086106
	global_atomic_add_f32 v6, v101, s[8:9] offset:768          // 000000008280: DD348300 00086506
	global_atomic_add_f32 v6, v105, s[8:9] offset:1024         // 000000008288: DD348400 00086906
	global_atomic_add_f32 v6, v109, s[8:9] offset:1280         // 000000008290: DD348500 00086D06
	global_atomic_add_f32 v6, v113, s[8:9] offset:1536         // 000000008298: DD348600 00087106
	global_atomic_add_f32 v6, v117, s[8:9] offset:1792         // 0000000082A0: DD348700 00087506
	s_mov_b64 exec, s[36:37]                                   // 0000000082A8: BEFE0124
	v_mov_b32_e32 v6, v45                                      // 0000000082AC: 7E0C032D
	s_mov_b64 s[60:61], 0                                      // 0000000082B0: BEBC0180
	v_readlane_b32 s82, v3, 8                                  // 0000000082B4: D2890052 00011103
	s_and_b32 s82, s82, 0xffffff                               // 0000000082BC: 8652FF52 00FFFFFF
	s_cmp_lt_u32 s82, s66                                      // 0000000082C4: BF0A4252
	s_cselect_b32 s20, s36, s60                                // 0000000082C8: 85143C24
	v_readlane_b32 s82, v3, 9                                  // 0000000082CC: D2890052 00011303
	s_and_b32 s82, s82, 0xffffff                               // 0000000082D4: 8652FF52 00FFFFFF
	s_cmp_lt_u32 s82, s66                                      // 0000000082DC: BF0A4252
	s_cselect_b32 s21, s36, s60                                // 0000000082E0: 85153C24
	s_mov_b64 exec, s[20:21]                                   // 0000000082E4: BEFE0114
	global_atomic_add_f32 v6, v120, s[8:9]                     // 0000000082E8: DD348000 00087806
	global_atomic_add_f32 v6, v124, s[8:9] offset:256          // 0000000082F0: DD348100 00087C06
	global_atomic_add_f32 v6, v128, s[8:9] offset:512          // 0000000082F8: DD348200 00088006
	global_atomic_add_f32 v6, v132, s[8:9] offset:768          // 000000008300: DD348300 00088406
	global_atomic_add_f32 v6, v136, s[8:9] offset:1024         // 000000008308: DD348400 00088806
	global_atomic_add_f32 v6, v140, s[8:9] offset:1280         // 000000008310: DD348500 00088C06
	global_atomic_add_f32 v6, v144, s[8:9] offset:1536         // 000000008318: DD348600 00089006
	global_atomic_add_f32 v6, v148, s[8:9] offset:1792         // 000000008320: DD348700 00089406
	s_mov_b64 exec, s[36:37]                                   // 000000008328: BEFE0124
	v_mov_b32_e32 v6, v46                                      // 00000000832C: 7E0C032E
	s_mov_b64 s[60:61], 0                                      // 000000008330: BEBC0180
	v_readlane_b32 s82, v3, 10                                 // 000000008334: D2890052 00011503
	s_and_b32 s82, s82, 0xffffff                               // 00000000833C: 8652FF52 00FFFFFF
	s_cmp_lt_u32 s82, s66                                      // 000000008344: BF0A4252
	s_cselect_b32 s20, s36, s60                                // 000000008348: 85143C24
	v_readlane_b32 s82, v3, 11                                 // 00000000834C: D2890052 00011703
	s_and_b32 s82, s82, 0xffffff                               // 000000008354: 8652FF52 00FFFFFF
	s_cmp_lt_u32 s82, s66                                      // 00000000835C: BF0A4252
	s_cselect_b32 s21, s36, s60                                // 000000008360: 85153C24
	s_mov_b64 exec, s[20:21]                                   // 000000008364: BEFE0114
	global_atomic_add_f32 v6, v121, s[8:9]                     // 000000008368: DD348000 00087906
	global_atomic_add_f32 v6, v125, s[8:9] offset:256          // 000000008370: DD348100 00087D06
	global_atomic_add_f32 v6, v129, s[8:9] offset:512          // 000000008378: DD348200 00088106
	global_atomic_add_f32 v6, v133, s[8:9] offset:768          // 000000008380: DD348300 00088506
	global_atomic_add_f32 v6, v137, s[8:9] offset:1024         // 000000008388: DD348400 00088906
	global_atomic_add_f32 v6, v141, s[8:9] offset:1280         // 000000008390: DD348500 00088D06
	global_atomic_add_f32 v6, v145, s[8:9] offset:1536         // 000000008398: DD348600 00089106
	global_atomic_add_f32 v6, v149, s[8:9] offset:1792         // 0000000083A0: DD348700 00089506
	s_mov_b64 exec, s[36:37]                                   // 0000000083A8: BEFE0124
	ds_write_b64 v20, v[58:59]                                 // 0000000083AC: D89A0000 00003A14
	ds_write_b64 v20, v[62:63] offset:17408                    // 0000000083B4: D89A4400 00003E14
	ds_write_b64 v20, v[66:67] offset:34816                    // 0000000083BC: D89A8800 00004214
	ds_write_b64 v20, v[70:71] offset:2176                     // 0000000083C4: D89A0880 00004614
	ds_write_b64 v20, v[74:75] offset:19584                    // 0000000083CC: D89A4C80 00004A14
	ds_write_b64 v20, v[78:79] offset:36992                    // 0000000083D4: D89A9080 00004E14
	ds_write_b64 v20, v[82:83] offset:4352                     // 0000000083DC: D89A1100 00005214
	ds_write_b64 v20, v[86:87] offset:21760                    // 0000000083E4: D89A5500 00005614
	ds_write_b64 v20, v[90:91] offset:39168                    // 0000000083EC: D89A9900 00005A14
	ds_write_b64 v20, v[94:95] offset:6528                     // 0000000083F4: D89A1980 00005E14
	ds_write_b64 v20, v[98:99] offset:23936                    // 0000000083FC: D89A5D80 00006214
	ds_write_b64 v20, v[102:103] offset:41344                  // 000000008404: D89AA180 00006614
	ds_write_b64 v20, v[106:107] offset:8704                   // 00000000840C: D89A2200 00006A14
	ds_write_b64 v20, v[110:111] offset:26112                  // 000000008414: D89A6600 00006E14
	ds_write_b64 v20, v[114:115] offset:43520                  // 00000000841C: D89AAA00 00007214
	ds_write_b64 v20, v[118:119] offset:10880                  // 000000008424: D89A2A80 00007614
	ds_write_b64 v20, v[122:123] offset:28288                  // 00000000842C: D89A6E80 00007A14
	ds_write_b64 v20, v[126:127] offset:45696                  // 000000008434: D89AB280 00007E14
	ds_write_b64 v20, v[130:131] offset:13056                  // 00000000843C: D89A3300 00008214
	ds_write_b64 v20, v[134:135] offset:30464                  // 000000008444: D89A7700 00008614
	ds_write_b64 v20, v[138:139] offset:47872                  // 00000000844C: D89ABB00 00008A14
	ds_write_b64 v20, v[142:143] offset:15232                  // 000000008454: D89A3B80 00008E14
	ds_write_b64 v20, v[146:147] offset:32640                  // 00000000845C: D89A7F80 00009214
	ds_write_b64 v20, v[150:151] offset:50048                  // 000000008464: D89AC380 00009614
	s_waitcnt lgkmcnt(0)                                       // 00000000846C: BF8CC07F
	s_barrier                                                  // 000000008470: BF8A0000
	ds_read_b32 v58, v21                                       // 000000008474: D86C0000 3A000015
	ds_read_b32 v59, v21 offset:64                             // 00000000847C: D86C0040 3B000015
	ds_read_b32 v62, v21 offset:2176                           // 000000008484: D86C0880 3E000015
	ds_read_b32 v63, v21 offset:2240                           // 00000000848C: D86C08C0 3F000015
	ds_read_b32 v66, v21 offset:4352                           // 000000008494: D86C1100 42000015
	ds_read_b32 v67, v21 offset:4416                           // 00000000849C: D86C1140 43000015
	ds_read_b32 v70, v21 offset:6528                           // 0000000084A4: D86C1980 46000015
	ds_read_b32 v71, v21 offset:6592                           // 0000000084AC: D86C19C0 47000015
	ds_read_b32 v74, v21 offset:8704                           // 0000000084B4: D86C2200 4A000015
	ds_read_b32 v75, v21 offset:8768                           // 0000000084BC: D86C2240 4B000015
	ds_read_b32 v78, v21 offset:10880                          // 0000000084C4: D86C2A80 4E000015
	ds_read_b32 v79, v21 offset:10944                          // 0000000084CC: D86C2AC0 4F000015
	ds_read_b32 v82, v21 offset:13056                          // 0000000084D4: D86C3300 52000015
	ds_read_b32 v83, v21 offset:13120                          // 0000000084DC: D86C3340 53000015
	ds_read_b32 v86, v21 offset:15232                          // 0000000084E4: D86C3B80 56000015
	ds_read_b32 v87, v21 offset:15296                          // 0000000084EC: D86C3BC0 57000015
	ds_read_b32 v90, v21 offset:17408                          // 0000000084F4: D86C4400 5A000015
	ds_read_b32 v91, v21 offset:17472                          // 0000000084FC: D86C4440 5B000015
	ds_read_b32 v94, v21 offset:19584                          // 000000008504: D86C4C80 5E000015
	ds_read_b32 v95, v21 offset:19648                          // 00000000850C: D86C4CC0 5F000015
	ds_read_b32 v98, v21 offset:21760                          // 000000008514: D86C5500 62000015
	ds_read_b32 v99, v21 offset:21824                          // 00000000851C: D86C5540 63000015
	ds_read_b32 v102, v21 offset:23936                         // 000000008524: D86C5D80 66000015
	ds_read_b32 v103, v21 offset:24000                         // 00000000852C: D86C5DC0 67000015
	ds_read_b32 v106, v21 offset:26112                         // 000000008534: D86C6600 6A000015
	ds_read_b32 v107, v21 offset:26176                         // 00000000853C: D86C6640 6B000015
	ds_read_b32 v110, v21 offset:28288                         // 000000008544: D86C6E80 6E000015
	ds_read_b32 v111, v21 offset:28352                         // 00000000854C: D86C6EC0 6F000015
	ds_read_b32 v114, v21 offset:30464                         // 000000008554: D86C7700 72000015
	ds_read_b32 v115, v21 offset:30528                         // 00000000855C: D86C7740 73000015
	ds_read_b32 v118, v21 offset:32640                         // 000000008564: D86C7F80 76000015
	ds_read_b32 v119, v21 offset:32704                         // 00000000856C: D86C7FC0 77000015
	ds_read_b32 v122, v21 offset:34816                         // 000000008574: D86C8800 7A000015
	ds_read_b32 v123, v21 offset:34880                         // 00000000857C: D86C8840 7B000015
	ds_read_b32 v126, v21 offset:36992                         // 000000008584: D86C9080 7E000015
	ds_read_b32 v127, v21 offset:37056                         // 00000000858C: D86C90C0 7F000015
	ds_read_b32 v130, v21 offset:39168                         // 000000008594: D86C9900 82000015
	ds_read_b32 v131, v21 offset:39232                         // 00000000859C: D86C9940 83000015
	ds_read_b32 v134, v21 offset:41344                         // 0000000085A4: D86CA180 86000015
	ds_read_b32 v135, v21 offset:41408                         // 0000000085AC: D86CA1C0 87000015
	ds_read_b32 v138, v21 offset:43520                         // 0000000085B4: D86CAA00 8A000015
	ds_read_b32 v139, v21 offset:43584                         // 0000000085BC: D86CAA40 8B000015
	ds_read_b32 v142, v21 offset:45696                         // 0000000085C4: D86CB280 8E000015
	ds_read_b32 v143, v21 offset:45760                         // 0000000085CC: D86CB2C0 8F000015
	ds_read_b32 v146, v21 offset:47872                         // 0000000085D4: D86CBB00 92000015
	ds_read_b32 v147, v21 offset:47936                         // 0000000085DC: D86CBB40 93000015
	ds_read_b32 v150, v21 offset:50048                         // 0000000085E4: D86CC380 96000015
	ds_read_b32 v151, v21 offset:50112                         // 0000000085EC: D86CC3C0 97000015
	s_waitcnt lgkmcnt(0)                                       // 0000000085F4: BF8CC07F
	v_mov_b32_e32 v7, 0                                        // 0000000085F8: 7E0E0280
	s_mov_b64 exec, s[36:37]                                   // 0000000085FC: BEFE0124
	v_mov_b32_e32 v6, v41                                      // 000000008600: 7E0C0329
	s_mov_b64 s[60:61], 0                                      // 000000008604: BEBC0180
	v_readlane_b32 s82, v3, 0                                  // 000000008608: D2890052 00010103
	s_and_b32 s82, s82, 0xffffff                               // 000000008610: 8652FF52 00FFFFFF
	s_cmp_lt_u32 s82, s66                                      // 000000008618: BF0A4252
	s_cselect_b32 s20, s36, s60                                // 00000000861C: 85143C24
	v_readlane_b32 s82, v3, 1                                  // 000000008620: D2890052 00010303
	s_and_b32 s82, s82, 0xffffff                               // 000000008628: 8652FF52 00FFFFFF
	s_cmp_lt_u32 s82, s66                                      // 000000008630: BF0A4252
	s_cselect_b32 s21, s36, s60                                // 000000008634: 85153C24
	s_mov_b64 exec, s[20:21]                                   // 000000008638: BEFE0114
	global_atomic_add_f32 v6, v58, s[8:9] offset:8             // 00000000863C: DD348008 00083A06
	global_atomic_add_f32 v6, v62, s[8:9] offset:264           // 000000008644: DD348108 00083E06
	global_atomic_add_f32 v6, v66, s[8:9] offset:520           // 00000000864C: DD348208 00084206
	global_atomic_add_f32 v6, v70, s[8:9] offset:776           // 000000008654: DD348308 00084606
	global_atomic_add_f32 v6, v74, s[8:9] offset:1032          // 00000000865C: DD348408 00084A06
	global_atomic_add_f32 v6, v78, s[8:9] offset:1288          // 000000008664: DD348508 00084E06
	global_atomic_add_f32 v6, v82, s[8:9] offset:1544          // 00000000866C: DD348608 00085206
	global_atomic_add_f32 v6, v86, s[8:9] offset:1800          // 000000008674: DD348708 00085606
	s_mov_b64 exec, s[36:37]                                   // 00000000867C: BEFE0124
	v_mov_b32_e32 v6, v42                                      // 000000008680: 7E0C032A
	s_mov_b64 s[60:61], 0                                      // 000000008684: BEBC0180
	v_readlane_b32 s82, v3, 2                                  // 000000008688: D2890052 00010503
	s_and_b32 s82, s82, 0xffffff                               // 000000008690: 8652FF52 00FFFFFF
	s_cmp_lt_u32 s82, s66                                      // 000000008698: BF0A4252
	s_cselect_b32 s20, s36, s60                                // 00000000869C: 85143C24
	v_readlane_b32 s82, v3, 3                                  // 0000000086A0: D2890052 00010703
	s_and_b32 s82, s82, 0xffffff                               // 0000000086A8: 8652FF52 00FFFFFF
	s_cmp_lt_u32 s82, s66                                      // 0000000086B0: BF0A4252
	s_cselect_b32 s21, s36, s60                                // 0000000086B4: 85153C24
	s_mov_b64 exec, s[20:21]                                   // 0000000086B8: BEFE0114
	global_atomic_add_f32 v6, v59, s[8:9] offset:8             // 0000000086BC: DD348008 00083B06
	global_atomic_add_f32 v6, v63, s[8:9] offset:264           // 0000000086C4: DD348108 00083F06
	global_atomic_add_f32 v6, v67, s[8:9] offset:520           // 0000000086CC: DD348208 00084306
	global_atomic_add_f32 v6, v71, s[8:9] offset:776           // 0000000086D4: DD348308 00084706
	global_atomic_add_f32 v6, v75, s[8:9] offset:1032          // 0000000086DC: DD348408 00084B06
	global_atomic_add_f32 v6, v79, s[8:9] offset:1288          // 0000000086E4: DD348508 00084F06
	global_atomic_add_f32 v6, v83, s[8:9] offset:1544          // 0000000086EC: DD348608 00085306
	global_atomic_add_f32 v6, v87, s[8:9] offset:1800          // 0000000086F4: DD348708 00085706
	s_mov_b64 exec, s[36:37]                                   // 0000000086FC: BEFE0124
	v_mov_b32_e32 v6, v43                                      // 000000008700: 7E0C032B
	s_mov_b64 s[60:61], 0                                      // 000000008704: BEBC0180
	v_readlane_b32 s82, v3, 4                                  // 000000008708: D2890052 00010903
	s_and_b32 s82, s82, 0xffffff                               // 000000008710: 8652FF52 00FFFFFF
	s_cmp_lt_u32 s82, s66                                      // 000000008718: BF0A4252
	s_cselect_b32 s20, s36, s60                                // 00000000871C: 85143C24
	v_readlane_b32 s82, v3, 5                                  // 000000008720: D2890052 00010B03
	s_and_b32 s82, s82, 0xffffff                               // 000000008728: 8652FF52 00FFFFFF
	s_cmp_lt_u32 s82, s66                                      // 000000008730: BF0A4252
	s_cselect_b32 s21, s36, s60                                // 000000008734: 85153C24
	s_mov_b64 exec, s[20:21]                                   // 000000008738: BEFE0114
	global_atomic_add_f32 v6, v90, s[8:9] offset:8             // 00000000873C: DD348008 00085A06
	global_atomic_add_f32 v6, v94, s[8:9] offset:264           // 000000008744: DD348108 00085E06
	global_atomic_add_f32 v6, v98, s[8:9] offset:520           // 00000000874C: DD348208 00086206
	global_atomic_add_f32 v6, v102, s[8:9] offset:776          // 000000008754: DD348308 00086606
	global_atomic_add_f32 v6, v106, s[8:9] offset:1032         // 00000000875C: DD348408 00086A06
	global_atomic_add_f32 v6, v110, s[8:9] offset:1288         // 000000008764: DD348508 00086E06
	global_atomic_add_f32 v6, v114, s[8:9] offset:1544         // 00000000876C: DD348608 00087206
	global_atomic_add_f32 v6, v118, s[8:9] offset:1800         // 000000008774: DD348708 00087606
	s_mov_b64 exec, s[36:37]                                   // 00000000877C: BEFE0124
	v_mov_b32_e32 v6, v44                                      // 000000008780: 7E0C032C
	s_mov_b64 s[60:61], 0                                      // 000000008784: BEBC0180
	v_readlane_b32 s82, v3, 6                                  // 000000008788: D2890052 00010D03
	s_and_b32 s82, s82, 0xffffff                               // 000000008790: 8652FF52 00FFFFFF
	s_cmp_lt_u32 s82, s66                                      // 000000008798: BF0A4252
	s_cselect_b32 s20, s36, s60                                // 00000000879C: 85143C24
	v_readlane_b32 s82, v3, 7                                  // 0000000087A0: D2890052 00010F03
	s_and_b32 s82, s82, 0xffffff                               // 0000000087A8: 8652FF52 00FFFFFF
	s_cmp_lt_u32 s82, s66                                      // 0000000087B0: BF0A4252
	s_cselect_b32 s21, s36, s60                                // 0000000087B4: 85153C24
	s_mov_b64 exec, s[20:21]                                   // 0000000087B8: BEFE0114
	global_atomic_add_f32 v6, v91, s[8:9] offset:8             // 0000000087BC: DD348008 00085B06
	global_atomic_add_f32 v6, v95, s[8:9] offset:264           // 0000000087C4: DD348108 00085F06
	global_atomic_add_f32 v6, v99, s[8:9] offset:520           // 0000000087CC: DD348208 00086306
	global_atomic_add_f32 v6, v103, s[8:9] offset:776          // 0000000087D4: DD348308 00086706
	global_atomic_add_f32 v6, v107, s[8:9] offset:1032         // 0000000087DC: DD348408 00086B06
	global_atomic_add_f32 v6, v111, s[8:9] offset:1288         // 0000000087E4: DD348508 00086F06
	global_atomic_add_f32 v6, v115, s[8:9] offset:1544         // 0000000087EC: DD348608 00087306
	global_atomic_add_f32 v6, v119, s[8:9] offset:1800         // 0000000087F4: DD348708 00087706
	s_mov_b64 exec, s[36:37]                                   // 0000000087FC: BEFE0124
	v_mov_b32_e32 v6, v45                                      // 000000008800: 7E0C032D
	s_mov_b64 s[60:61], 0                                      // 000000008804: BEBC0180
	v_readlane_b32 s82, v3, 8                                  // 000000008808: D2890052 00011103
	s_and_b32 s82, s82, 0xffffff                               // 000000008810: 8652FF52 00FFFFFF
	s_cmp_lt_u32 s82, s66                                      // 000000008818: BF0A4252
	s_cselect_b32 s20, s36, s60                                // 00000000881C: 85143C24
	v_readlane_b32 s82, v3, 9                                  // 000000008820: D2890052 00011303
	s_and_b32 s82, s82, 0xffffff                               // 000000008828: 8652FF52 00FFFFFF
	s_cmp_lt_u32 s82, s66                                      // 000000008830: BF0A4252
	s_cselect_b32 s21, s36, s60                                // 000000008834: 85153C24
	s_mov_b64 exec, s[20:21]                                   // 000000008838: BEFE0114
	global_atomic_add_f32 v6, v122, s[8:9] offset:8            // 00000000883C: DD348008 00087A06
	global_atomic_add_f32 v6, v126, s[8:9] offset:264          // 000000008844: DD348108 00087E06
	global_atomic_add_f32 v6, v130, s[8:9] offset:520          // 00000000884C: DD348208 00088206
	global_atomic_add_f32 v6, v134, s[8:9] offset:776          // 000000008854: DD348308 00088606
	global_atomic_add_f32 v6, v138, s[8:9] offset:1032         // 00000000885C: DD348408 00088A06
	global_atomic_add_f32 v6, v142, s[8:9] offset:1288         // 000000008864: DD348508 00088E06
	global_atomic_add_f32 v6, v146, s[8:9] offset:1544         // 00000000886C: DD348608 00089206
	global_atomic_add_f32 v6, v150, s[8:9] offset:1800         // 000000008874: DD348708 00089606
	s_mov_b64 exec, s[36:37]                                   // 00000000887C: BEFE0124
	v_mov_b32_e32 v6, v46                                      // 000000008880: 7E0C032E
	s_mov_b64 s[60:61], 0                                      // 000000008884: BEBC0180
	v_readlane_b32 s82, v3, 10                                 // 000000008888: D2890052 00011503
	s_and_b32 s82, s82, 0xffffff                               // 000000008890: 8652FF52 00FFFFFF
	s_cmp_lt_u32 s82, s66                                      // 000000008898: BF0A4252
	s_cselect_b32 s20, s36, s60                                // 00000000889C: 85143C24
	v_readlane_b32 s82, v3, 11                                 // 0000000088A0: D2890052 00011703
	s_and_b32 s82, s82, 0xffffff                               // 0000000088A8: 8652FF52 00FFFFFF
	s_cmp_lt_u32 s82, s66                                      // 0000000088B0: BF0A4252
	s_cselect_b32 s21, s36, s60                                // 0000000088B4: 85153C24
	s_mov_b64 exec, s[20:21]                                   // 0000000088B8: BEFE0114
	global_atomic_add_f32 v6, v123, s[8:9] offset:8            // 0000000088BC: DD348008 00087B06
	global_atomic_add_f32 v6, v127, s[8:9] offset:264          // 0000000088C4: DD348108 00087F06
	global_atomic_add_f32 v6, v131, s[8:9] offset:520          // 0000000088CC: DD348208 00088306
	global_atomic_add_f32 v6, v135, s[8:9] offset:776          // 0000000088D4: DD348308 00088706
	global_atomic_add_f32 v6, v139, s[8:9] offset:1032         // 0000000088DC: DD348408 00088B06
	global_atomic_add_f32 v6, v143, s[8:9] offset:1288         // 0000000088E4: DD348508 00088F06
	global_atomic_add_f32 v6, v147, s[8:9] offset:1544         // 0000000088EC: DD348608 00089306
	global_atomic_add_f32 v6, v151, s[8:9] offset:1800         // 0000000088F4: DD348708 00089706
	s_mov_b64 exec, s[36:37]                                   // 0000000088FC: BEFE0124
	ds_write_b64 v20, v[152:153]                               // 000000008900: D89A0000 00009814
	ds_write_b64 v20, v[156:157] offset:17408                  // 000000008908: D89A4400 00009C14
	ds_write_b64 v20, v[160:161] offset:34816                  // 000000008910: D89A8800 0000A014
	ds_write_b64 v20, v[164:165] offset:2176                   // 000000008918: D89A0880 0000A414
	ds_write_b64 v20, v[168:169] offset:19584                  // 000000008920: D89A4C80 0000A814
	ds_write_b64 v20, v[172:173] offset:36992                  // 000000008928: D89A9080 0000AC14
	ds_write_b64 v20, v[176:177] offset:4352                   // 000000008930: D89A1100 0000B014
	ds_write_b64 v20, v[180:181] offset:21760                  // 000000008938: D89A5500 0000B414
	ds_write_b64 v20, v[184:185] offset:39168                  // 000000008940: D89A9900 0000B814
	ds_write_b64 v20, v[188:189] offset:6528                   // 000000008948: D89A1980 0000BC14
	ds_write_b64 v20, v[192:193] offset:23936                  // 000000008950: D89A5D80 0000C014
	ds_write_b64 v20, v[196:197] offset:41344                  // 000000008958: D89AA180 0000C414
	ds_write_b64 v20, v[200:201] offset:8704                   // 000000008960: D89A2200 0000C814
	ds_write_b64 v20, v[204:205] offset:26112                  // 000000008968: D89A6600 0000CC14
	ds_write_b64 v20, v[208:209] offset:43520                  // 000000008970: D89AAA00 0000D014
	ds_write_b64 v20, v[212:213] offset:10880                  // 000000008978: D89A2A80 0000D414
	ds_write_b64 v20, v[216:217] offset:28288                  // 000000008980: D89A6E80 0000D814
	ds_write_b64 v20, v[220:221] offset:45696                  // 000000008988: D89AB280 0000DC14
	ds_write_b64 v20, v[224:225] offset:13056                  // 000000008990: D89A3300 0000E014
	ds_write_b64 v20, v[228:229] offset:30464                  // 000000008998: D89A7700 0000E414
	ds_write_b64 v20, v[232:233] offset:47872                  // 0000000089A0: D89ABB00 0000E814
	ds_write_b64 v20, v[236:237] offset:15232                  // 0000000089A8: D89A3B80 0000EC14
	ds_write_b64 v20, v[240:241] offset:32640                  // 0000000089B0: D89A7F80 0000F014
	ds_write_b64 v20, v[244:245] offset:50048                  // 0000000089B8: D89AC380 0000F414
	s_waitcnt lgkmcnt(0)                                       // 0000000089C0: BF8CC07F
	s_barrier                                                  // 0000000089C4: BF8A0000
	ds_read_b32 v152, v21                                      // 0000000089C8: D86C0000 98000015
	ds_read_b32 v153, v21 offset:64                            // 0000000089D0: D86C0040 99000015
	ds_read_b32 v156, v21 offset:2176                          // 0000000089D8: D86C0880 9C000015
	ds_read_b32 v157, v21 offset:2240                          // 0000000089E0: D86C08C0 9D000015
	ds_read_b32 v160, v21 offset:4352                          // 0000000089E8: D86C1100 A0000015
	ds_read_b32 v161, v21 offset:4416                          // 0000000089F0: D86C1140 A1000015
	ds_read_b32 v164, v21 offset:6528                          // 0000000089F8: D86C1980 A4000015
	ds_read_b32 v165, v21 offset:6592                          // 000000008A00: D86C19C0 A5000015
	ds_read_b32 v168, v21 offset:8704                          // 000000008A08: D86C2200 A8000015
	ds_read_b32 v169, v21 offset:8768                          // 000000008A10: D86C2240 A9000015
	ds_read_b32 v172, v21 offset:10880                         // 000000008A18: D86C2A80 AC000015
	ds_read_b32 v173, v21 offset:10944                         // 000000008A20: D86C2AC0 AD000015
	ds_read_b32 v176, v21 offset:13056                         // 000000008A28: D86C3300 B0000015
	ds_read_b32 v177, v21 offset:13120                         // 000000008A30: D86C3340 B1000015
	ds_read_b32 v180, v21 offset:15232                         // 000000008A38: D86C3B80 B4000015
	ds_read_b32 v181, v21 offset:15296                         // 000000008A40: D86C3BC0 B5000015
	ds_read_b32 v184, v21 offset:17408                         // 000000008A48: D86C4400 B8000015
	ds_read_b32 v185, v21 offset:17472                         // 000000008A50: D86C4440 B9000015
	ds_read_b32 v188, v21 offset:19584                         // 000000008A58: D86C4C80 BC000015
	ds_read_b32 v189, v21 offset:19648                         // 000000008A60: D86C4CC0 BD000015
	ds_read_b32 v192, v21 offset:21760                         // 000000008A68: D86C5500 C0000015
	ds_read_b32 v193, v21 offset:21824                         // 000000008A70: D86C5540 C1000015
	ds_read_b32 v196, v21 offset:23936                         // 000000008A78: D86C5D80 C4000015
	ds_read_b32 v197, v21 offset:24000                         // 000000008A80: D86C5DC0 C5000015
	ds_read_b32 v200, v21 offset:26112                         // 000000008A88: D86C6600 C8000015
	ds_read_b32 v201, v21 offset:26176                         // 000000008A90: D86C6640 C9000015
	ds_read_b32 v204, v21 offset:28288                         // 000000008A98: D86C6E80 CC000015
	ds_read_b32 v205, v21 offset:28352                         // 000000008AA0: D86C6EC0 CD000015
	ds_read_b32 v208, v21 offset:30464                         // 000000008AA8: D86C7700 D0000015
	ds_read_b32 v209, v21 offset:30528                         // 000000008AB0: D86C7740 D1000015
	ds_read_b32 v212, v21 offset:32640                         // 000000008AB8: D86C7F80 D4000015
	ds_read_b32 v213, v21 offset:32704                         // 000000008AC0: D86C7FC0 D5000015
	ds_read_b32 v216, v21 offset:34816                         // 000000008AC8: D86C8800 D8000015
	ds_read_b32 v217, v21 offset:34880                         // 000000008AD0: D86C8840 D9000015
	ds_read_b32 v220, v21 offset:36992                         // 000000008AD8: D86C9080 DC000015
	ds_read_b32 v221, v21 offset:37056                         // 000000008AE0: D86C90C0 DD000015
	ds_read_b32 v224, v21 offset:39168                         // 000000008AE8: D86C9900 E0000015
	ds_read_b32 v225, v21 offset:39232                         // 000000008AF0: D86C9940 E1000015
	ds_read_b32 v228, v21 offset:41344                         // 000000008AF8: D86CA180 E4000015
	ds_read_b32 v229, v21 offset:41408                         // 000000008B00: D86CA1C0 E5000015
	ds_read_b32 v232, v21 offset:43520                         // 000000008B08: D86CAA00 E8000015
	ds_read_b32 v233, v21 offset:43584                         // 000000008B10: D86CAA40 E9000015
	ds_read_b32 v236, v21 offset:45696                         // 000000008B18: D86CB280 EC000015
	ds_read_b32 v237, v21 offset:45760                         // 000000008B20: D86CB2C0 ED000015
	ds_read_b32 v240, v21 offset:47872                         // 000000008B28: D86CBB00 F0000015
	ds_read_b32 v241, v21 offset:47936                         // 000000008B30: D86CBB40 F1000015
	ds_read_b32 v244, v21 offset:50048                         // 000000008B38: D86CC380 F4000015
	ds_read_b32 v245, v21 offset:50112                         // 000000008B40: D86CC3C0 F5000015
	s_mul_i32 s60, s65, 4                                      // 000000008B48: 923C8441
	s_add_u32 s8, s60, s8                                      // 000000008B4C: 8008083C
	s_addc_u32 s9, 0, s9                                       // 000000008B50: 82090980
	s_waitcnt lgkmcnt(0)                                       // 000000008B54: BF8CC07F
	v_mov_b32_e32 v7, 0                                        // 000000008B58: 7E0E0280
	s_mov_b64 exec, s[36:37]                                   // 000000008B5C: BEFE0124
	v_mov_b32_e32 v6, v41                                      // 000000008B60: 7E0C0329
	s_mov_b64 s[60:61], 0                                      // 000000008B64: BEBC0180
	v_readlane_b32 s82, v3, 0                                  // 000000008B68: D2890052 00010103
	s_and_b32 s82, s82, 0xffffff                               // 000000008B70: 8652FF52 00FFFFFF
	s_cmp_lt_u32 s82, s66                                      // 000000008B78: BF0A4252
	s_cselect_b32 s20, s36, s60                                // 000000008B7C: 85143C24
	v_readlane_b32 s82, v3, 1                                  // 000000008B80: D2890052 00010303
	s_and_b32 s82, s82, 0xffffff                               // 000000008B88: 8652FF52 00FFFFFF
	s_cmp_lt_u32 s82, s66                                      // 000000008B90: BF0A4252
	s_cselect_b32 s21, s36, s60                                // 000000008B94: 85153C24
	s_mov_b64 exec, s[20:21]                                   // 000000008B98: BEFE0114
	global_atomic_add_f32 v6, v152, s[8:9]                     // 000000008B9C: DD348000 00089806
	global_atomic_add_f32 v6, v156, s[8:9] offset:256          // 000000008BA4: DD348100 00089C06
	global_atomic_add_f32 v6, v160, s[8:9] offset:512          // 000000008BAC: DD348200 0008A006
	global_atomic_add_f32 v6, v164, s[8:9] offset:768          // 000000008BB4: DD348300 0008A406
	global_atomic_add_f32 v6, v168, s[8:9] offset:1024         // 000000008BBC: DD348400 0008A806
	global_atomic_add_f32 v6, v172, s[8:9] offset:1280         // 000000008BC4: DD348500 0008AC06
	global_atomic_add_f32 v6, v176, s[8:9] offset:1536         // 000000008BCC: DD348600 0008B006
	global_atomic_add_f32 v6, v180, s[8:9] offset:1792         // 000000008BD4: DD348700 0008B406
	s_mov_b64 exec, s[36:37]                                   // 000000008BDC: BEFE0124
	v_mov_b32_e32 v6, v42                                      // 000000008BE0: 7E0C032A
	s_mov_b64 s[60:61], 0                                      // 000000008BE4: BEBC0180
	v_readlane_b32 s82, v3, 2                                  // 000000008BE8: D2890052 00010503
	s_and_b32 s82, s82, 0xffffff                               // 000000008BF0: 8652FF52 00FFFFFF
	s_cmp_lt_u32 s82, s66                                      // 000000008BF8: BF0A4252
	s_cselect_b32 s20, s36, s60                                // 000000008BFC: 85143C24
	v_readlane_b32 s82, v3, 3                                  // 000000008C00: D2890052 00010703
	s_and_b32 s82, s82, 0xffffff                               // 000000008C08: 8652FF52 00FFFFFF
	s_cmp_lt_u32 s82, s66                                      // 000000008C10: BF0A4252
	s_cselect_b32 s21, s36, s60                                // 000000008C14: 85153C24
	s_mov_b64 exec, s[20:21]                                   // 000000008C18: BEFE0114
	global_atomic_add_f32 v6, v153, s[8:9]                     // 000000008C1C: DD348000 00089906
	global_atomic_add_f32 v6, v157, s[8:9] offset:256          // 000000008C24: DD348100 00089D06
	global_atomic_add_f32 v6, v161, s[8:9] offset:512          // 000000008C2C: DD348200 0008A106
	global_atomic_add_f32 v6, v165, s[8:9] offset:768          // 000000008C34: DD348300 0008A506
	global_atomic_add_f32 v6, v169, s[8:9] offset:1024         // 000000008C3C: DD348400 0008A906
	global_atomic_add_f32 v6, v173, s[8:9] offset:1280         // 000000008C44: DD348500 0008AD06
	global_atomic_add_f32 v6, v177, s[8:9] offset:1536         // 000000008C4C: DD348600 0008B106
	global_atomic_add_f32 v6, v181, s[8:9] offset:1792         // 000000008C54: DD348700 0008B506
	s_mov_b64 exec, s[36:37]                                   // 000000008C5C: BEFE0124
	v_mov_b32_e32 v6, v43                                      // 000000008C60: 7E0C032B
	s_mov_b64 s[60:61], 0                                      // 000000008C64: BEBC0180
	v_readlane_b32 s82, v3, 4                                  // 000000008C68: D2890052 00010903
	s_and_b32 s82, s82, 0xffffff                               // 000000008C70: 8652FF52 00FFFFFF
	s_cmp_lt_u32 s82, s66                                      // 000000008C78: BF0A4252
	s_cselect_b32 s20, s36, s60                                // 000000008C7C: 85143C24
	v_readlane_b32 s82, v3, 5                                  // 000000008C80: D2890052 00010B03
	s_and_b32 s82, s82, 0xffffff                               // 000000008C88: 8652FF52 00FFFFFF
	s_cmp_lt_u32 s82, s66                                      // 000000008C90: BF0A4252
	s_cselect_b32 s21, s36, s60                                // 000000008C94: 85153C24
	s_mov_b64 exec, s[20:21]                                   // 000000008C98: BEFE0114
	global_atomic_add_f32 v6, v184, s[8:9]                     // 000000008C9C: DD348000 0008B806
	global_atomic_add_f32 v6, v188, s[8:9] offset:256          // 000000008CA4: DD348100 0008BC06
	global_atomic_add_f32 v6, v192, s[8:9] offset:512          // 000000008CAC: DD348200 0008C006
	global_atomic_add_f32 v6, v196, s[8:9] offset:768          // 000000008CB4: DD348300 0008C406
	global_atomic_add_f32 v6, v200, s[8:9] offset:1024         // 000000008CBC: DD348400 0008C806
	global_atomic_add_f32 v6, v204, s[8:9] offset:1280         // 000000008CC4: DD348500 0008CC06
	global_atomic_add_f32 v6, v208, s[8:9] offset:1536         // 000000008CCC: DD348600 0008D006
	global_atomic_add_f32 v6, v212, s[8:9] offset:1792         // 000000008CD4: DD348700 0008D406
	s_mov_b64 exec, s[36:37]                                   // 000000008CDC: BEFE0124
	v_mov_b32_e32 v6, v44                                      // 000000008CE0: 7E0C032C
	s_mov_b64 s[60:61], 0                                      // 000000008CE4: BEBC0180
	v_readlane_b32 s82, v3, 6                                  // 000000008CE8: D2890052 00010D03
	s_and_b32 s82, s82, 0xffffff                               // 000000008CF0: 8652FF52 00FFFFFF
	s_cmp_lt_u32 s82, s66                                      // 000000008CF8: BF0A4252
	s_cselect_b32 s20, s36, s60                                // 000000008CFC: 85143C24
	v_readlane_b32 s82, v3, 7                                  // 000000008D00: D2890052 00010F03
	s_and_b32 s82, s82, 0xffffff                               // 000000008D08: 8652FF52 00FFFFFF
	s_cmp_lt_u32 s82, s66                                      // 000000008D10: BF0A4252
	s_cselect_b32 s21, s36, s60                                // 000000008D14: 85153C24
	s_mov_b64 exec, s[20:21]                                   // 000000008D18: BEFE0114
	global_atomic_add_f32 v6, v185, s[8:9]                     // 000000008D1C: DD348000 0008B906
	global_atomic_add_f32 v6, v189, s[8:9] offset:256          // 000000008D24: DD348100 0008BD06
	global_atomic_add_f32 v6, v193, s[8:9] offset:512          // 000000008D2C: DD348200 0008C106
	global_atomic_add_f32 v6, v197, s[8:9] offset:768          // 000000008D34: DD348300 0008C506
	global_atomic_add_f32 v6, v201, s[8:9] offset:1024         // 000000008D3C: DD348400 0008C906
	global_atomic_add_f32 v6, v205, s[8:9] offset:1280         // 000000008D44: DD348500 0008CD06
	global_atomic_add_f32 v6, v209, s[8:9] offset:1536         // 000000008D4C: DD348600 0008D106
	global_atomic_add_f32 v6, v213, s[8:9] offset:1792         // 000000008D54: DD348700 0008D506
	s_mov_b64 exec, s[36:37]                                   // 000000008D5C: BEFE0124
	v_mov_b32_e32 v6, v45                                      // 000000008D60: 7E0C032D
	s_mov_b64 s[60:61], 0                                      // 000000008D64: BEBC0180
	v_readlane_b32 s82, v3, 8                                  // 000000008D68: D2890052 00011103
	s_and_b32 s82, s82, 0xffffff                               // 000000008D70: 8652FF52 00FFFFFF
	s_cmp_lt_u32 s82, s66                                      // 000000008D78: BF0A4252
	s_cselect_b32 s20, s36, s60                                // 000000008D7C: 85143C24
	v_readlane_b32 s82, v3, 9                                  // 000000008D80: D2890052 00011303
	s_and_b32 s82, s82, 0xffffff                               // 000000008D88: 8652FF52 00FFFFFF
	s_cmp_lt_u32 s82, s66                                      // 000000008D90: BF0A4252
	s_cselect_b32 s21, s36, s60                                // 000000008D94: 85153C24
	s_mov_b64 exec, s[20:21]                                   // 000000008D98: BEFE0114
	global_atomic_add_f32 v6, v216, s[8:9]                     // 000000008D9C: DD348000 0008D806
	global_atomic_add_f32 v6, v220, s[8:9] offset:256          // 000000008DA4: DD348100 0008DC06
	global_atomic_add_f32 v6, v224, s[8:9] offset:512          // 000000008DAC: DD348200 0008E006
	global_atomic_add_f32 v6, v228, s[8:9] offset:768          // 000000008DB4: DD348300 0008E406
	global_atomic_add_f32 v6, v232, s[8:9] offset:1024         // 000000008DBC: DD348400 0008E806
	global_atomic_add_f32 v6, v236, s[8:9] offset:1280         // 000000008DC4: DD348500 0008EC06
	global_atomic_add_f32 v6, v240, s[8:9] offset:1536         // 000000008DCC: DD348600 0008F006
	global_atomic_add_f32 v6, v244, s[8:9] offset:1792         // 000000008DD4: DD348700 0008F406
	s_mov_b64 exec, s[36:37]                                   // 000000008DDC: BEFE0124
	v_mov_b32_e32 v6, v46                                      // 000000008DE0: 7E0C032E
	s_mov_b64 s[60:61], 0                                      // 000000008DE4: BEBC0180
	v_readlane_b32 s82, v3, 10                                 // 000000008DE8: D2890052 00011503
	s_and_b32 s82, s82, 0xffffff                               // 000000008DF0: 8652FF52 00FFFFFF
	s_cmp_lt_u32 s82, s66                                      // 000000008DF8: BF0A4252
	s_cselect_b32 s20, s36, s60                                // 000000008DFC: 85143C24
	v_readlane_b32 s82, v3, 11                                 // 000000008E00: D2890052 00011703
	s_and_b32 s82, s82, 0xffffff                               // 000000008E08: 8652FF52 00FFFFFF
	s_cmp_lt_u32 s82, s66                                      // 000000008E10: BF0A4252
	s_cselect_b32 s21, s36, s60                                // 000000008E14: 85153C24
	s_mov_b64 exec, s[20:21]                                   // 000000008E18: BEFE0114
	global_atomic_add_f32 v6, v217, s[8:9]                     // 000000008E1C: DD348000 0008D906
	global_atomic_add_f32 v6, v221, s[8:9] offset:256          // 000000008E24: DD348100 0008DD06
	global_atomic_add_f32 v6, v225, s[8:9] offset:512          // 000000008E2C: DD348200 0008E106
	global_atomic_add_f32 v6, v229, s[8:9] offset:768          // 000000008E34: DD348300 0008E506
	global_atomic_add_f32 v6, v233, s[8:9] offset:1024         // 000000008E3C: DD348400 0008E906
	global_atomic_add_f32 v6, v237, s[8:9] offset:1280         // 000000008E44: DD348500 0008ED06
	global_atomic_add_f32 v6, v241, s[8:9] offset:1536         // 000000008E4C: DD348600 0008F106
	global_atomic_add_f32 v6, v245, s[8:9] offset:1792         // 000000008E54: DD348700 0008F506
	s_mov_b64 exec, s[36:37]                                   // 000000008E5C: BEFE0124
	ds_write_b64 v20, v[154:155]                               // 000000008E60: D89A0000 00009A14
	ds_write_b64 v20, v[158:159] offset:17408                  // 000000008E68: D89A4400 00009E14
	ds_write_b64 v20, v[162:163] offset:34816                  // 000000008E70: D89A8800 0000A214
	ds_write_b64 v20, v[166:167] offset:2176                   // 000000008E78: D89A0880 0000A614
	ds_write_b64 v20, v[170:171] offset:19584                  // 000000008E80: D89A4C80 0000AA14
	ds_write_b64 v20, v[174:175] offset:36992                  // 000000008E88: D89A9080 0000AE14
	ds_write_b64 v20, v[178:179] offset:4352                   // 000000008E90: D89A1100 0000B214
	ds_write_b64 v20, v[182:183] offset:21760                  // 000000008E98: D89A5500 0000B614
	ds_write_b64 v20, v[186:187] offset:39168                  // 000000008EA0: D89A9900 0000BA14
	ds_write_b64 v20, v[190:191] offset:6528                   // 000000008EA8: D89A1980 0000BE14
	ds_write_b64 v20, v[194:195] offset:23936                  // 000000008EB0: D89A5D80 0000C214
	ds_write_b64 v20, v[198:199] offset:41344                  // 000000008EB8: D89AA180 0000C614
	ds_write_b64 v20, v[202:203] offset:8704                   // 000000008EC0: D89A2200 0000CA14
	ds_write_b64 v20, v[206:207] offset:26112                  // 000000008EC8: D89A6600 0000CE14
	ds_write_b64 v20, v[210:211] offset:43520                  // 000000008ED0: D89AAA00 0000D214
	ds_write_b64 v20, v[214:215] offset:10880                  // 000000008ED8: D89A2A80 0000D614
	ds_write_b64 v20, v[218:219] offset:28288                  // 000000008EE0: D89A6E80 0000DA14
	ds_write_b64 v20, v[222:223] offset:45696                  // 000000008EE8: D89AB280 0000DE14
	ds_write_b64 v20, v[226:227] offset:13056                  // 000000008EF0: D89A3300 0000E214
	ds_write_b64 v20, v[230:231] offset:30464                  // 000000008EF8: D89A7700 0000E614
	ds_write_b64 v20, v[234:235] offset:47872                  // 000000008F00: D89ABB00 0000EA14
	ds_write_b64 v20, v[238:239] offset:15232                  // 000000008F08: D89A3B80 0000EE14
	ds_write_b64 v20, v[242:243] offset:32640                  // 000000008F10: D89A7F80 0000F214
	ds_write_b64 v20, v[246:247] offset:50048                  // 000000008F18: D89AC380 0000F614
	s_waitcnt lgkmcnt(0)                                       // 000000008F20: BF8CC07F
	s_barrier                                                  // 000000008F24: BF8A0000
	ds_read_b32 v154, v21                                      // 000000008F28: D86C0000 9A000015
	ds_read_b32 v155, v21 offset:64                            // 000000008F30: D86C0040 9B000015
	ds_read_b32 v158, v21 offset:2176                          // 000000008F38: D86C0880 9E000015
	ds_read_b32 v159, v21 offset:2240                          // 000000008F40: D86C08C0 9F000015
	ds_read_b32 v162, v21 offset:4352                          // 000000008F48: D86C1100 A2000015
	ds_read_b32 v163, v21 offset:4416                          // 000000008F50: D86C1140 A3000015
	ds_read_b32 v166, v21 offset:6528                          // 000000008F58: D86C1980 A6000015
	ds_read_b32 v167, v21 offset:6592                          // 000000008F60: D86C19C0 A7000015
	ds_read_b32 v170, v21 offset:8704                          // 000000008F68: D86C2200 AA000015
	ds_read_b32 v171, v21 offset:8768                          // 000000008F70: D86C2240 AB000015
	ds_read_b32 v174, v21 offset:10880                         // 000000008F78: D86C2A80 AE000015
	ds_read_b32 v175, v21 offset:10944                         // 000000008F80: D86C2AC0 AF000015
	ds_read_b32 v178, v21 offset:13056                         // 000000008F88: D86C3300 B2000015
	ds_read_b32 v179, v21 offset:13120                         // 000000008F90: D86C3340 B3000015
	ds_read_b32 v182, v21 offset:15232                         // 000000008F98: D86C3B80 B6000015
	ds_read_b32 v183, v21 offset:15296                         // 000000008FA0: D86C3BC0 B7000015
	ds_read_b32 v186, v21 offset:17408                         // 000000008FA8: D86C4400 BA000015
	ds_read_b32 v187, v21 offset:17472                         // 000000008FB0: D86C4440 BB000015
	ds_read_b32 v190, v21 offset:19584                         // 000000008FB8: D86C4C80 BE000015
	ds_read_b32 v191, v21 offset:19648                         // 000000008FC0: D86C4CC0 BF000015
	ds_read_b32 v194, v21 offset:21760                         // 000000008FC8: D86C5500 C2000015
	ds_read_b32 v195, v21 offset:21824                         // 000000008FD0: D86C5540 C3000015
	ds_read_b32 v198, v21 offset:23936                         // 000000008FD8: D86C5D80 C6000015
	ds_read_b32 v199, v21 offset:24000                         // 000000008FE0: D86C5DC0 C7000015
	ds_read_b32 v202, v21 offset:26112                         // 000000008FE8: D86C6600 CA000015
	ds_read_b32 v203, v21 offset:26176                         // 000000008FF0: D86C6640 CB000015
	ds_read_b32 v206, v21 offset:28288                         // 000000008FF8: D86C6E80 CE000015
	ds_read_b32 v207, v21 offset:28352                         // 000000009000: D86C6EC0 CF000015
	ds_read_b32 v210, v21 offset:30464                         // 000000009008: D86C7700 D2000015
	ds_read_b32 v211, v21 offset:30528                         // 000000009010: D86C7740 D3000015
	ds_read_b32 v214, v21 offset:32640                         // 000000009018: D86C7F80 D6000015
	ds_read_b32 v215, v21 offset:32704                         // 000000009020: D86C7FC0 D7000015
	ds_read_b32 v218, v21 offset:34816                         // 000000009028: D86C8800 DA000015
	ds_read_b32 v219, v21 offset:34880                         // 000000009030: D86C8840 DB000015
	ds_read_b32 v222, v21 offset:36992                         // 000000009038: D86C9080 DE000015
	ds_read_b32 v223, v21 offset:37056                         // 000000009040: D86C90C0 DF000015
	ds_read_b32 v226, v21 offset:39168                         // 000000009048: D86C9900 E2000015
	ds_read_b32 v227, v21 offset:39232                         // 000000009050: D86C9940 E3000015
	ds_read_b32 v230, v21 offset:41344                         // 000000009058: D86CA180 E6000015
	ds_read_b32 v231, v21 offset:41408                         // 000000009060: D86CA1C0 E7000015
	ds_read_b32 v234, v21 offset:43520                         // 000000009068: D86CAA00 EA000015
	ds_read_b32 v235, v21 offset:43584                         // 000000009070: D86CAA40 EB000015
	ds_read_b32 v238, v21 offset:45696                         // 000000009078: D86CB280 EE000015
	ds_read_b32 v239, v21 offset:45760                         // 000000009080: D86CB2C0 EF000015
	ds_read_b32 v242, v21 offset:47872                         // 000000009088: D86CBB00 F2000015
	ds_read_b32 v243, v21 offset:47936                         // 000000009090: D86CBB40 F3000015
	ds_read_b32 v246, v21 offset:50048                         // 000000009098: D86CC380 F6000015
	ds_read_b32 v247, v21 offset:50112                         // 0000000090A0: D86CC3C0 F7000015
	s_waitcnt lgkmcnt(0)                                       // 0000000090A8: BF8CC07F
	v_mov_b32_e32 v7, 0                                        // 0000000090AC: 7E0E0280
	s_mov_b64 exec, s[36:37]                                   // 0000000090B0: BEFE0124
	v_mov_b32_e32 v6, v41                                      // 0000000090B4: 7E0C0329
	s_mov_b64 s[60:61], 0                                      // 0000000090B8: BEBC0180
	v_readlane_b32 s82, v3, 0                                  // 0000000090BC: D2890052 00010103
	s_and_b32 s82, s82, 0xffffff                               // 0000000090C4: 8652FF52 00FFFFFF
	s_cmp_lt_u32 s82, s66                                      // 0000000090CC: BF0A4252
	s_cselect_b32 s20, s36, s60                                // 0000000090D0: 85143C24
	v_readlane_b32 s82, v3, 1                                  // 0000000090D4: D2890052 00010303
	s_and_b32 s82, s82, 0xffffff                               // 0000000090DC: 8652FF52 00FFFFFF
	s_cmp_lt_u32 s82, s66                                      // 0000000090E4: BF0A4252
	s_cselect_b32 s21, s36, s60                                // 0000000090E8: 85153C24
	s_mov_b64 exec, s[20:21]                                   // 0000000090EC: BEFE0114
	global_atomic_add_f32 v6, v154, s[8:9] offset:8            // 0000000090F0: DD348008 00089A06
	global_atomic_add_f32 v6, v158, s[8:9] offset:264          // 0000000090F8: DD348108 00089E06
	global_atomic_add_f32 v6, v162, s[8:9] offset:520          // 000000009100: DD348208 0008A206
	global_atomic_add_f32 v6, v166, s[8:9] offset:776          // 000000009108: DD348308 0008A606
	global_atomic_add_f32 v6, v170, s[8:9] offset:1032         // 000000009110: DD348408 0008AA06
	global_atomic_add_f32 v6, v174, s[8:9] offset:1288         // 000000009118: DD348508 0008AE06
	global_atomic_add_f32 v6, v178, s[8:9] offset:1544         // 000000009120: DD348608 0008B206
	global_atomic_add_f32 v6, v182, s[8:9] offset:1800         // 000000009128: DD348708 0008B606
	s_mov_b64 exec, s[36:37]                                   // 000000009130: BEFE0124
	v_mov_b32_e32 v6, v42                                      // 000000009134: 7E0C032A
	s_mov_b64 s[60:61], 0                                      // 000000009138: BEBC0180
	v_readlane_b32 s82, v3, 2                                  // 00000000913C: D2890052 00010503
	s_and_b32 s82, s82, 0xffffff                               // 000000009144: 8652FF52 00FFFFFF
	s_cmp_lt_u32 s82, s66                                      // 00000000914C: BF0A4252
	s_cselect_b32 s20, s36, s60                                // 000000009150: 85143C24
	v_readlane_b32 s82, v3, 3                                  // 000000009154: D2890052 00010703
	s_and_b32 s82, s82, 0xffffff                               // 00000000915C: 8652FF52 00FFFFFF
	s_cmp_lt_u32 s82, s66                                      // 000000009164: BF0A4252
	s_cselect_b32 s21, s36, s60                                // 000000009168: 85153C24
	s_mov_b64 exec, s[20:21]                                   // 00000000916C: BEFE0114
	global_atomic_add_f32 v6, v155, s[8:9] offset:8            // 000000009170: DD348008 00089B06
	global_atomic_add_f32 v6, v159, s[8:9] offset:264          // 000000009178: DD348108 00089F06
	global_atomic_add_f32 v6, v163, s[8:9] offset:520          // 000000009180: DD348208 0008A306
	global_atomic_add_f32 v6, v167, s[8:9] offset:776          // 000000009188: DD348308 0008A706
	global_atomic_add_f32 v6, v171, s[8:9] offset:1032         // 000000009190: DD348408 0008AB06
	global_atomic_add_f32 v6, v175, s[8:9] offset:1288         // 000000009198: DD348508 0008AF06
	global_atomic_add_f32 v6, v179, s[8:9] offset:1544         // 0000000091A0: DD348608 0008B306
	global_atomic_add_f32 v6, v183, s[8:9] offset:1800         // 0000000091A8: DD348708 0008B706
	s_mov_b64 exec, s[36:37]                                   // 0000000091B0: BEFE0124
	v_mov_b32_e32 v6, v43                                      // 0000000091B4: 7E0C032B
	s_mov_b64 s[60:61], 0                                      // 0000000091B8: BEBC0180
	v_readlane_b32 s82, v3, 4                                  // 0000000091BC: D2890052 00010903
	s_and_b32 s82, s82, 0xffffff                               // 0000000091C4: 8652FF52 00FFFFFF
	s_cmp_lt_u32 s82, s66                                      // 0000000091CC: BF0A4252
	s_cselect_b32 s20, s36, s60                                // 0000000091D0: 85143C24
	v_readlane_b32 s82, v3, 5                                  // 0000000091D4: D2890052 00010B03
	s_and_b32 s82, s82, 0xffffff                               // 0000000091DC: 8652FF52 00FFFFFF
	s_cmp_lt_u32 s82, s66                                      // 0000000091E4: BF0A4252
	s_cselect_b32 s21, s36, s60                                // 0000000091E8: 85153C24
	s_mov_b64 exec, s[20:21]                                   // 0000000091EC: BEFE0114
	global_atomic_add_f32 v6, v186, s[8:9] offset:8            // 0000000091F0: DD348008 0008BA06
	global_atomic_add_f32 v6, v190, s[8:9] offset:264          // 0000000091F8: DD348108 0008BE06
	global_atomic_add_f32 v6, v194, s[8:9] offset:520          // 000000009200: DD348208 0008C206
	global_atomic_add_f32 v6, v198, s[8:9] offset:776          // 000000009208: DD348308 0008C606
	global_atomic_add_f32 v6, v202, s[8:9] offset:1032         // 000000009210: DD348408 0008CA06
	global_atomic_add_f32 v6, v206, s[8:9] offset:1288         // 000000009218: DD348508 0008CE06
	global_atomic_add_f32 v6, v210, s[8:9] offset:1544         // 000000009220: DD348608 0008D206
	global_atomic_add_f32 v6, v214, s[8:9] offset:1800         // 000000009228: DD348708 0008D606
	s_mov_b64 exec, s[36:37]                                   // 000000009230: BEFE0124
	v_mov_b32_e32 v6, v44                                      // 000000009234: 7E0C032C
	s_mov_b64 s[60:61], 0                                      // 000000009238: BEBC0180
	v_readlane_b32 s82, v3, 6                                  // 00000000923C: D2890052 00010D03
	s_and_b32 s82, s82, 0xffffff                               // 000000009244: 8652FF52 00FFFFFF
	s_cmp_lt_u32 s82, s66                                      // 00000000924C: BF0A4252
	s_cselect_b32 s20, s36, s60                                // 000000009250: 85143C24
	v_readlane_b32 s82, v3, 7                                  // 000000009254: D2890052 00010F03
	s_and_b32 s82, s82, 0xffffff                               // 00000000925C: 8652FF52 00FFFFFF
	s_cmp_lt_u32 s82, s66                                      // 000000009264: BF0A4252
	s_cselect_b32 s21, s36, s60                                // 000000009268: 85153C24
	s_mov_b64 exec, s[20:21]                                   // 00000000926C: BEFE0114
	global_atomic_add_f32 v6, v187, s[8:9] offset:8            // 000000009270: DD348008 0008BB06
	global_atomic_add_f32 v6, v191, s[8:9] offset:264          // 000000009278: DD348108 0008BF06
	global_atomic_add_f32 v6, v195, s[8:9] offset:520          // 000000009280: DD348208 0008C306
	global_atomic_add_f32 v6, v199, s[8:9] offset:776          // 000000009288: DD348308 0008C706
	global_atomic_add_f32 v6, v203, s[8:9] offset:1032         // 000000009290: DD348408 0008CB06
	global_atomic_add_f32 v6, v207, s[8:9] offset:1288         // 000000009298: DD348508 0008CF06
	global_atomic_add_f32 v6, v211, s[8:9] offset:1544         // 0000000092A0: DD348608 0008D306
	global_atomic_add_f32 v6, v215, s[8:9] offset:1800         // 0000000092A8: DD348708 0008D706
	s_mov_b64 exec, s[36:37]                                   // 0000000092B0: BEFE0124
	v_mov_b32_e32 v6, v45                                      // 0000000092B4: 7E0C032D
	s_mov_b64 s[60:61], 0                                      // 0000000092B8: BEBC0180
	v_readlane_b32 s82, v3, 8                                  // 0000000092BC: D2890052 00011103
	s_and_b32 s82, s82, 0xffffff                               // 0000000092C4: 8652FF52 00FFFFFF
	s_cmp_lt_u32 s82, s66                                      // 0000000092CC: BF0A4252
	s_cselect_b32 s20, s36, s60                                // 0000000092D0: 85143C24
	v_readlane_b32 s82, v3, 9                                  // 0000000092D4: D2890052 00011303
	s_and_b32 s82, s82, 0xffffff                               // 0000000092DC: 8652FF52 00FFFFFF
	s_cmp_lt_u32 s82, s66                                      // 0000000092E4: BF0A4252
	s_cselect_b32 s21, s36, s60                                // 0000000092E8: 85153C24
	s_mov_b64 exec, s[20:21]                                   // 0000000092EC: BEFE0114
	global_atomic_add_f32 v6, v218, s[8:9] offset:8            // 0000000092F0: DD348008 0008DA06
	global_atomic_add_f32 v6, v222, s[8:9] offset:264          // 0000000092F8: DD348108 0008DE06
	global_atomic_add_f32 v6, v226, s[8:9] offset:520          // 000000009300: DD348208 0008E206
	global_atomic_add_f32 v6, v230, s[8:9] offset:776          // 000000009308: DD348308 0008E606
	global_atomic_add_f32 v6, v234, s[8:9] offset:1032         // 000000009310: DD348408 0008EA06
	global_atomic_add_f32 v6, v238, s[8:9] offset:1288         // 000000009318: DD348508 0008EE06
	global_atomic_add_f32 v6, v242, s[8:9] offset:1544         // 000000009320: DD348608 0008F206
	global_atomic_add_f32 v6, v246, s[8:9] offset:1800         // 000000009328: DD348708 0008F606
	s_mov_b64 exec, s[36:37]                                   // 000000009330: BEFE0124
	v_mov_b32_e32 v6, v46                                      // 000000009334: 7E0C032E
	s_mov_b64 s[60:61], 0                                      // 000000009338: BEBC0180
	v_readlane_b32 s82, v3, 10                                 // 00000000933C: D2890052 00011503
	s_and_b32 s82, s82, 0xffffff                               // 000000009344: 8652FF52 00FFFFFF
	s_cmp_lt_u32 s82, s66                                      // 00000000934C: BF0A4252
	s_cselect_b32 s20, s36, s60                                // 000000009350: 85143C24
	v_readlane_b32 s82, v3, 11                                 // 000000009354: D2890052 00011703
	s_and_b32 s82, s82, 0xffffff                               // 00000000935C: 8652FF52 00FFFFFF
	s_cmp_lt_u32 s82, s66                                      // 000000009364: BF0A4252
	s_cselect_b32 s21, s36, s60                                // 000000009368: 85153C24
	s_mov_b64 exec, s[20:21]                                   // 00000000936C: BEFE0114
	global_atomic_add_f32 v6, v219, s[8:9] offset:8            // 000000009370: DD348008 0008DB06
	global_atomic_add_f32 v6, v223, s[8:9] offset:264          // 000000009378: DD348108 0008DF06
	global_atomic_add_f32 v6, v227, s[8:9] offset:520          // 000000009380: DD348208 0008E306
	global_atomic_add_f32 v6, v231, s[8:9] offset:776          // 000000009388: DD348308 0008E706
	global_atomic_add_f32 v6, v235, s[8:9] offset:1032         // 000000009390: DD348408 0008EB06
	global_atomic_add_f32 v6, v239, s[8:9] offset:1288         // 000000009398: DD348508 0008EF06
	global_atomic_add_f32 v6, v243, s[8:9] offset:1544         // 0000000093A0: DD348608 0008F306
	global_atomic_add_f32 v6, v247, s[8:9] offset:1800         // 0000000093A8: DD348708 0008F706
	s_mov_b64 exec, s[36:37]                                   // 0000000093B0: BEFE0124
	s_branch label_3204                                        // 0000000093B4: BF821793

00000000000093b8 <label_1A71>:
	s_waitcnt vmcnt(14) lgkmcnt(0)                             // 0000000093B8: BF8C007E
	s_barrier                                                  // 0000000093BC: BF8A0000
	v_mfma_f32_16x16x32_fp8_fp8 v[56:59], a[48:49], a[0:1], v[56:59]// 0000000093C0: D3F30038 1CE20130
	buffer_load_dwordx4 a[112:115], v47, s[84:87], 0 offen     // 0000000093C8: E05C1000 8095702F
	v_mfma_f32_16x16x32_fp8_fp8 v[56:59], a[50:51], a[2:3], v[56:59]// 0000000093D0: D3F30038 1CE20532
	v_mfma_f32_16x16x32_fp8_fp8 v[56:59], a[52:53], a[4:5], v[56:59]// 0000000093D8: D3F30038 1CE20934
	v_mfma_f32_16x16x32_fp8_fp8 v[56:59], a[54:55], a[6:7], v[56:59]// 0000000093E0: D3F30038 1CE20D36
	v_mfma_f32_16x16x32_fp8_fp8 v[60:63], a[48:49], a[8:9], v[60:63]// 0000000093E8: D3F3003C 1CF21130
	buffer_load_dwordx4 a[116:119], v47, s[84:87], 0 offen offset:1024// 0000000093F0: E05C1400 8095742F
	v_mfma_f32_16x16x32_fp8_fp8 v[60:63], a[50:51], a[10:11], v[60:63]// 0000000093F8: D3F3003C 1CF21532
	v_mfma_f32_16x16x32_fp8_fp8 v[60:63], a[52:53], a[12:13], v[60:63]// 000000009400: D3F3003C 1CF21934
	v_mfma_f32_16x16x32_fp8_fp8 v[60:63], a[54:55], a[14:15], v[60:63]// 000000009408: D3F3003C 1CF21D36
	v_mfma_f32_16x16x32_fp8_fp8 v[64:67], a[48:49], a[16:17], v[64:67]// 000000009410: D3F30040 1D022130
	buffer_load_dwordx4 a[120:123], v48, s[84:87], 0 offen     // 000000009418: E05C1000 80957830
	v_mfma_f32_16x16x32_fp8_fp8 v[64:67], a[50:51], a[18:19], v[64:67]// 000000009420: D3F30040 1D022532
	v_mfma_f32_16x16x32_fp8_fp8 v[64:67], a[52:53], a[20:21], v[64:67]// 000000009428: D3F30040 1D022934
	v_mfma_f32_16x16x32_fp8_fp8 v[64:67], a[54:55], a[22:23], v[64:67]// 000000009430: D3F30040 1D022D36
	s_waitcnt vmcnt(15)                                        // 000000009438: BF8C0F7F
	v_mfma_f32_16x16x32_fp8_fp8 v[68:71], a[56:57], a[0:1], v[68:71]// 00000000943C: D3F30044 1D120138
	buffer_load_dwordx4 a[124:127], v48, s[84:87], 0 offen offset:1024// 000000009444: E05C1400 80957C30
	v_mfma_f32_16x16x32_fp8_fp8 v[68:71], a[58:59], a[2:3], v[68:71]// 00000000944C: D3F30044 1D12053A
	v_mfma_f32_16x16x32_fp8_fp8 v[68:71], a[60:61], a[4:5], v[68:71]// 000000009454: D3F30044 1D12093C
	v_mfma_f32_16x16x32_fp8_fp8 v[68:71], a[62:63], a[6:7], v[68:71]// 00000000945C: D3F30044 1D120D3E
	v_mfma_f32_16x16x32_fp8_fp8 v[72:75], a[56:57], a[8:9], v[72:75]// 000000009464: D3F30048 1D221138
	buffer_load_dwordx4 a[128:131], v49, s[84:87], 0 offen     // 00000000946C: E05C1000 80958031
	v_mfma_f32_16x16x32_fp8_fp8 v[72:75], a[58:59], a[10:11], v[72:75]// 000000009474: D3F30048 1D22153A
	v_mfma_f32_16x16x32_fp8_fp8 v[72:75], a[60:61], a[12:13], v[72:75]// 00000000947C: D3F30048 1D22193C
	v_mfma_f32_16x16x32_fp8_fp8 v[72:75], a[62:63], a[14:15], v[72:75]// 000000009484: D3F30048 1D221D3E
	v_mfma_f32_16x16x32_fp8_fp8 v[76:79], a[56:57], a[16:17], v[76:79]// 00000000948C: D3F3004C 1D322138
	buffer_load_dwordx4 a[132:135], v49, s[84:87], 0 offen offset:1024// 000000009494: E05C1400 80958431
	v_mfma_f32_16x16x32_fp8_fp8 v[76:79], a[58:59], a[18:19], v[76:79]// 00000000949C: D3F3004C 1D32253A
	v_mfma_f32_16x16x32_fp8_fp8 v[76:79], a[60:61], a[20:21], v[76:79]// 0000000094A4: D3F3004C 1D32293C
	v_mfma_f32_16x16x32_fp8_fp8 v[76:79], a[62:63], a[22:23], v[76:79]// 0000000094AC: D3F3004C 1D322D3E
	s_waitcnt vmcnt(16)                                        // 0000000094B4: BF8C4F70
	v_mfma_f32_16x16x32_fp8_fp8 v[80:83], a[64:65], a[0:1], v[80:83]// 0000000094B8: D3F30050 1D420140
	buffer_load_dwordx4 a[136:139], v50, s[84:87], 0 offen     // 0000000094C0: E05C1000 80958832
	v_mfma_f32_16x16x32_fp8_fp8 v[80:83], a[66:67], a[2:3], v[80:83]// 0000000094C8: D3F30050 1D420542
	v_mfma_f32_16x16x32_fp8_fp8 v[80:83], a[68:69], a[4:5], v[80:83]// 0000000094D0: D3F30050 1D420944
	v_mfma_f32_16x16x32_fp8_fp8 v[80:83], a[70:71], a[6:7], v[80:83]// 0000000094D8: D3F30050 1D420D46
	v_mfma_f32_16x16x32_fp8_fp8 v[84:87], a[64:65], a[8:9], v[84:87]// 0000000094E0: D3F30054 1D521140
	buffer_load_dwordx4 a[140:143], v50, s[84:87], 0 offen offset:1024// 0000000094E8: E05C1400 80958C32
	v_mfma_f32_16x16x32_fp8_fp8 v[84:87], a[66:67], a[10:11], v[84:87]// 0000000094F0: D3F30054 1D521542
	v_mfma_f32_16x16x32_fp8_fp8 v[84:87], a[68:69], a[12:13], v[84:87]// 0000000094F8: D3F30054 1D521944
	v_mfma_f32_16x16x32_fp8_fp8 v[84:87], a[70:71], a[14:15], v[84:87]// 000000009500: D3F30054 1D521D46
	v_mfma_f32_16x16x32_fp8_fp8 v[88:91], a[64:65], a[16:17], v[88:91]// 000000009508: D3F30058 1D622140
	buffer_load_dwordx4 a[144:147], v51, s[84:87], 0 offen     // 000000009510: E05C1000 80959033
	v_mfma_f32_16x16x32_fp8_fp8 v[88:91], a[66:67], a[18:19], v[88:91]// 000000009518: D3F30058 1D622542
	v_mfma_f32_16x16x32_fp8_fp8 v[88:91], a[68:69], a[20:21], v[88:91]// 000000009520: D3F30058 1D622944
	v_mfma_f32_16x16x32_fp8_fp8 v[88:91], a[70:71], a[22:23], v[88:91]// 000000009528: D3F30058 1D622D46
	s_waitcnt vmcnt(17)                                        // 000000009530: BF8C4F71
	v_mfma_f32_16x16x32_fp8_fp8 v[92:95], a[72:73], a[0:1], v[92:95]// 000000009534: D3F3005C 1D720148
	buffer_load_dwordx4 a[148:151], v51, s[84:87], 0 offen offset:1024// 00000000953C: E05C1400 80959433
	v_mfma_f32_16x16x32_fp8_fp8 v[92:95], a[74:75], a[2:3], v[92:95]// 000000009544: D3F3005C 1D72054A
	v_mfma_f32_16x16x32_fp8_fp8 v[92:95], a[76:77], a[4:5], v[92:95]// 00000000954C: D3F3005C 1D72094C
	v_mfma_f32_16x16x32_fp8_fp8 v[92:95], a[78:79], a[6:7], v[92:95]// 000000009554: D3F3005C 1D720D4E
	v_mfma_f32_16x16x32_fp8_fp8 v[96:99], a[72:73], a[8:9], v[96:99]// 00000000955C: D3F30060 1D821148
	buffer_load_dwordx4 a[152:155], v52, s[84:87], 0 offen     // 000000009564: E05C1000 80959834
	v_mfma_f32_16x16x32_fp8_fp8 v[96:99], a[74:75], a[10:11], v[96:99]// 00000000956C: D3F30060 1D82154A
	v_mfma_f32_16x16x32_fp8_fp8 v[96:99], a[76:77], a[12:13], v[96:99]// 000000009574: D3F30060 1D82194C
	v_mfma_f32_16x16x32_fp8_fp8 v[96:99], a[78:79], a[14:15], v[96:99]// 00000000957C: D3F30060 1D821D4E
	v_mfma_f32_16x16x32_fp8_fp8 v[100:103], a[72:73], a[16:17], v[100:103]// 000000009584: D3F30064 1D922148
	buffer_load_dwordx4 a[156:159], v52, s[84:87], 0 offen offset:1024// 00000000958C: E05C1400 80959C34
	v_mfma_f32_16x16x32_fp8_fp8 v[100:103], a[74:75], a[18:19], v[100:103]// 000000009594: D3F30064 1D92254A
	v_mfma_f32_16x16x32_fp8_fp8 v[100:103], a[76:77], a[20:21], v[100:103]// 00000000959C: D3F30064 1D92294C
	v_mfma_f32_16x16x32_fp8_fp8 v[100:103], a[78:79], a[22:23], v[100:103]// 0000000095A4: D3F30064 1D922D4E
	s_waitcnt vmcnt(18)                                        // 0000000095AC: BF8C4F72
	v_mfma_f32_16x16x32_fp8_fp8 v[104:107], a[80:81], a[0:1], v[104:107]// 0000000095B0: D3F30068 1DA20150
	buffer_load_dwordx4 a[160:163], v53, s[84:87], 0 offen     // 0000000095B8: E05C1000 8095A035
	v_mfma_f32_16x16x32_fp8_fp8 v[104:107], a[82:83], a[2:3], v[104:107]// 0000000095C0: D3F30068 1DA20552
	v_mfma_f32_16x16x32_fp8_fp8 v[104:107], a[84:85], a[4:5], v[104:107]// 0000000095C8: D3F30068 1DA20954
	v_mfma_f32_16x16x32_fp8_fp8 v[104:107], a[86:87], a[6:7], v[104:107]// 0000000095D0: D3F30068 1DA20D56
	v_mfma_f32_16x16x32_fp8_fp8 v[108:111], a[80:81], a[8:9], v[108:111]// 0000000095D8: D3F3006C 1DB21150
	buffer_load_dwordx4 a[164:167], v53, s[84:87], 0 offen offset:1024// 0000000095E0: E05C1400 8095A435
	v_mfma_f32_16x16x32_fp8_fp8 v[108:111], a[82:83], a[10:11], v[108:111]// 0000000095E8: D3F3006C 1DB21552
	v_mfma_f32_16x16x32_fp8_fp8 v[108:111], a[84:85], a[12:13], v[108:111]// 0000000095F0: D3F3006C 1DB21954
	v_mfma_f32_16x16x32_fp8_fp8 v[108:111], a[86:87], a[14:15], v[108:111]// 0000000095F8: D3F3006C 1DB21D56
	v_mfma_f32_16x16x32_fp8_fp8 v[112:115], a[80:81], a[16:17], v[112:115]// 000000009600: D3F30070 1DC22150
	buffer_load_dwordx4 a[168:171], v54, s[84:87], 0 offen     // 000000009608: E05C1000 8095A836
	v_mfma_f32_16x16x32_fp8_fp8 v[112:115], a[82:83], a[18:19], v[112:115]// 000000009610: D3F30070 1DC22552
	v_mfma_f32_16x16x32_fp8_fp8 v[112:115], a[84:85], a[20:21], v[112:115]// 000000009618: D3F30070 1DC22954
	v_mfma_f32_16x16x32_fp8_fp8 v[112:115], a[86:87], a[22:23], v[112:115]// 000000009620: D3F30070 1DC22D56
	s_waitcnt vmcnt(19)                                        // 000000009628: BF8C4F73
	v_mfma_f32_16x16x32_fp8_fp8 v[116:119], a[88:89], a[0:1], v[116:119]// 00000000962C: D3F30074 1DD20158
	buffer_load_dwordx4 a[172:175], v54, s[84:87], 0 offen offset:1024// 000000009634: E05C1400 8095AC36
	buffer_load_dword v41, s[20:23], 0 offen lds               // 00000000963C: E0511000 80050029
	s_add_u32 m0, 0x100, s48                                   // 000000009644: 807C30FF 00000100
	v_mfma_f32_16x16x32_fp8_fp8 v[116:119], a[90:91], a[2:3], v[116:119]// 00000000964C: D3F30074 1DD2055A
	v_mfma_f32_16x16x32_fp8_fp8 v[116:119], a[92:93], a[4:5], v[116:119]// 000000009654: D3F30074 1DD2095C
	buffer_load_dword v42, s[20:23], 0 offen lds               // 00000000965C: E0511000 8005002A
	s_add_u32 m0, 0x200, s48                                   // 000000009664: 807C30FF 00000200
	v_mfma_f32_16x16x32_fp8_fp8 v[116:119], a[94:95], a[6:7], v[116:119]// 00000000966C: D3F30074 1DD20D5E
	v_mfma_f32_16x16x32_fp8_fp8 v[120:123], a[88:89], a[8:9], v[120:123]// 000000009674: D3F30078 1DE21158
	buffer_load_dword v43, s[20:23], 0 offen lds               // 00000000967C: E0511000 8005002B
	s_add_u32 m0, 0x300, s48                                   // 000000009684: 807C30FF 00000300
	v_mfma_f32_16x16x32_fp8_fp8 v[120:123], a[90:91], a[10:11], v[120:123]// 00000000968C: D3F30078 1DE2155A
	v_mfma_f32_16x16x32_fp8_fp8 v[120:123], a[92:93], a[12:13], v[120:123]// 000000009694: D3F30078 1DE2195C
	buffer_load_dword v44, s[20:23], 0 offen lds               // 00000000969C: E0511000 8005002C
	s_add_u32 m0, 0x400, s48                                   // 0000000096A4: 807C30FF 00000400
	v_mfma_f32_16x16x32_fp8_fp8 v[120:123], a[94:95], a[14:15], v[120:123]// 0000000096AC: D3F30078 1DE21D5E
	v_mfma_f32_16x16x32_fp8_fp8 v[124:127], a[88:89], a[16:17], v[124:127]// 0000000096B4: D3F3007C 1DF22158
	buffer_load_dword v45, s[20:23], 0 offen lds               // 0000000096BC: E0511000 8005002D
	s_add_u32 m0, 0x500, s48                                   // 0000000096C4: 807C30FF 00000500
	v_mfma_f32_16x16x32_fp8_fp8 v[124:127], a[90:91], a[18:19], v[124:127]// 0000000096CC: D3F3007C 1DF2255A
	v_mfma_f32_16x16x32_fp8_fp8 v[124:127], a[92:93], a[20:21], v[124:127]// 0000000096D4: D3F3007C 1DF2295C
	buffer_load_dword v46, s[20:23], 0 offen lds               // 0000000096DC: E0511000 8005002E
	s_add_u32 m0, 0, s49                                       // 0000000096E4: 807C3180
	v_mfma_f32_16x16x32_fp8_fp8 v[124:127], a[94:95], a[22:23], v[124:127]// 0000000096E8: D3F3007C 1DF22D5E
	s_waitcnt vmcnt(24)                                        // 0000000096F0: BF8C4F78
	v_mfma_f32_16x16x32_fp8_fp8 v[128:131], a[96:97], a[0:1], v[128:131]// 0000000096F4: D3F30080 1E020160
	v_mfma_f32_16x16x32_fp8_fp8 v[128:131], a[98:99], a[2:3], v[128:131]// 0000000096FC: D3F30080 1E020562
	v_mfma_f32_16x16x32_fp8_fp8 v[128:131], a[100:101], a[4:5], v[128:131]// 000000009704: D3F30080 1E020964
	v_mfma_f32_16x16x32_fp8_fp8 v[128:131], a[102:103], a[6:7], v[128:131]// 00000000970C: D3F30080 1E020D66
	v_mfma_f32_16x16x32_fp8_fp8 v[132:135], a[96:97], a[8:9], v[132:135]// 000000009714: D3F30084 1E121160
	v_mfma_f32_16x16x32_fp8_fp8 v[132:135], a[98:99], a[10:11], v[132:135]// 00000000971C: D3F30084 1E121562
	v_mfma_f32_16x16x32_fp8_fp8 v[132:135], a[100:101], a[12:13], v[132:135]// 000000009724: D3F30084 1E121964
	v_mfma_f32_16x16x32_fp8_fp8 v[132:135], a[102:103], a[14:15], v[132:135]// 00000000972C: D3F30084 1E121D66
	v_mfma_f32_16x16x32_fp8_fp8 v[136:139], a[96:97], a[16:17], v[136:139]// 000000009734: D3F30088 1E222160
	v_mfma_f32_16x16x32_fp8_fp8 v[136:139], a[98:99], a[18:19], v[136:139]// 00000000973C: D3F30088 1E222562
	v_mfma_f32_16x16x32_fp8_fp8 v[136:139], a[100:101], a[20:21], v[136:139]// 000000009744: D3F30088 1E222964
	v_mfma_f32_16x16x32_fp8_fp8 v[136:139], a[102:103], a[22:23], v[136:139]// 00000000974C: D3F30088 1E222D66
	s_waitcnt vmcnt(22)                                        // 000000009754: BF8C4F76
	v_mfma_f32_16x16x32_fp8_fp8 v[140:143], a[104:105], a[0:1], v[140:143]// 000000009758: D3F3008C 1E320168
	v_mfma_f32_16x16x32_fp8_fp8 v[140:143], a[106:107], a[2:3], v[140:143]// 000000009760: D3F3008C 1E32056A
	v_mfma_f32_16x16x32_fp8_fp8 v[140:143], a[108:109], a[4:5], v[140:143]// 000000009768: D3F3008C 1E32096C
	v_mfma_f32_16x16x32_fp8_fp8 v[140:143], a[110:111], a[6:7], v[140:143]// 000000009770: D3F3008C 1E320D6E
	v_mfma_f32_16x16x32_fp8_fp8 v[144:147], a[104:105], a[8:9], v[144:147]// 000000009778: D3F30090 1E421168
	v_mfma_f32_16x16x32_fp8_fp8 v[144:147], a[106:107], a[10:11], v[144:147]// 000000009780: D3F30090 1E42156A
	v_mfma_f32_16x16x32_fp8_fp8 v[144:147], a[108:109], a[12:13], v[144:147]// 000000009788: D3F30090 1E42196C
	v_mfma_f32_16x16x32_fp8_fp8 v[144:147], a[110:111], a[14:15], v[144:147]// 000000009790: D3F30090 1E421D6E
	v_mfma_f32_16x16x32_fp8_fp8 v[148:151], a[104:105], a[16:17], v[148:151]// 000000009798: D3F30094 1E522168
	v_mfma_f32_16x16x32_fp8_fp8 v[148:151], a[106:107], a[18:19], v[148:151]// 0000000097A0: D3F30094 1E52256A
	s_add_u32 s60, 0x80, s80                                   // 0000000097A8: 803C50FF 00000080
	s_cmp_lt_u32 s60, s81                                      // 0000000097B0: BF0A513C
	s_cselect_b32 s83, s83, 0                                  // 0000000097B4: 85538053
	v_mfma_f32_16x16x32_fp8_fp8 v[148:151], a[108:109], a[20:21], v[148:151]// 0000000097B8: D3F30094 1E52296C
	v_mfma_f32_16x16x32_fp8_fp8 v[148:151], a[110:111], a[22:23], v[148:151]// 0000000097C0: D3F30094 1E522D6E
	s_waitcnt vmcnt(6)                                         // 0000000097C8: BF8C0F76
	v_mfma_f32_16x16x32_fp8_fp8 v[152:155], a[112:113], a[0:1], v[152:155]// 0000000097CC: D3F30098 1E620170
	buffer_load_dwordx4 a[48:51], v47, s[24:27], 0 offen       // 0000000097D4: E05C1000 8086302F
	v_mfma_f32_16x16x32_fp8_fp8 v[152:155], a[114:115], a[2:3], v[152:155]// 0000000097DC: D3F30098 1E620572
	v_mfma_f32_16x16x32_fp8_fp8 v[152:155], a[116:117], a[4:5], v[152:155]// 0000000097E4: D3F30098 1E620974
	ds_read_b128 a[24:27], v2 offset:6272                      // 0000000097EC: DBFE1880 18000002
	ds_read_b128 a[28:31], v2 offset:6336                      // 0000000097F4: DBFE18C0 1C000002
	v_mfma_f32_16x16x32_fp8_fp8 v[152:155], a[118:119], a[6:7], v[152:155]// 0000000097FC: D3F30098 1E620D76
	v_mfma_f32_16x16x32_fp8_fp8 v[164:167], a[120:121], a[0:1], v[164:167]// 000000009804: D3F300A4 1E920178
	buffer_load_dwordx4 a[52:55], v47, s[24:27], 0 offen offset:1024// 00000000980C: E05C1400 8086342F
	v_mfma_f32_16x16x32_fp8_fp8 v[164:167], a[122:123], a[2:3], v[164:167]// 000000009814: D3F300A4 1E92057A
	v_mfma_f32_16x16x32_fp8_fp8 v[164:167], a[124:125], a[4:5], v[164:167]// 00000000981C: D3F300A4 1E92097C
	ds_read_b128 a[32:35], v2 offset:6784                      // 000000009824: DBFE1A80 20000002
	ds_read_b128 a[36:39], v2 offset:6848                      // 00000000982C: DBFE1AC0 24000002
	v_mfma_f32_16x16x32_fp8_fp8 v[164:167], a[126:127], a[6:7], v[164:167]// 000000009834: D3F300A4 1E920D7E
	v_mfma_f32_16x16x32_fp8_fp8 v[176:179], a[128:129], a[0:1], v[176:179]// 00000000983C: D3F300B0 1EC20180
	buffer_load_dwordx4 a[56:59], v48, s[24:27], 0 offen       // 000000009844: E05C1000 80863830
	v_mfma_f32_16x16x32_fp8_fp8 v[176:179], a[130:131], a[2:3], v[176:179]// 00000000984C: D3F300B0 1EC20582
	v_mfma_f32_16x16x32_fp8_fp8 v[176:179], a[132:133], a[4:5], v[176:179]// 000000009854: D3F300B0 1EC20984
	ds_read_b128 a[40:43], v2 offset:7296                      // 00000000985C: DBFE1C80 28000002
	ds_read_b128 a[44:47], v2 offset:7360                      // 000000009864: DBFE1CC0 2C000002
	v_mfma_f32_16x16x32_fp8_fp8 v[176:179], a[134:135], a[6:7], v[176:179]// 00000000986C: D3F300B0 1EC20D86
	v_mfma_f32_16x16x32_fp8_fp8 v[188:191], a[136:137], a[0:1], v[188:191]// 000000009874: D3F300BC 1EF20188
	buffer_load_dwordx4 a[60:63], v48, s[24:27], 0 offen offset:1024// 00000000987C: E05C1400 80863C30
	v_mfma_f32_16x16x32_fp8_fp8 v[188:191], a[138:139], a[2:3], v[188:191]// 000000009884: D3F300BC 1EF2058A
	v_mfma_f32_16x16x32_fp8_fp8 v[188:191], a[140:141], a[4:5], v[188:191]// 00000000988C: D3F300BC 1EF2098C
	v_mfma_f32_16x16x32_fp8_fp8 v[188:191], a[142:143], a[6:7], v[188:191]// 000000009894: D3F300BC 1EF20D8E
	v_mfma_f32_16x16x32_fp8_fp8 v[200:203], a[144:145], a[0:1], v[200:203]// 00000000989C: D3F300C8 1F220190
	buffer_load_dwordx4 a[64:67], v49, s[24:27], 0 offen       // 0000000098A4: E05C1000 80864031
	v_mfma_f32_16x16x32_fp8_fp8 v[200:203], a[146:147], a[2:3], v[200:203]// 0000000098AC: D3F300C8 1F220592
	v_mfma_f32_16x16x32_fp8_fp8 v[200:203], a[148:149], a[4:5], v[200:203]// 0000000098B4: D3F300C8 1F220994
	v_mfma_f32_16x16x32_fp8_fp8 v[200:203], a[150:151], a[6:7], v[200:203]// 0000000098BC: D3F300C8 1F220D96
	v_mfma_f32_16x16x32_fp8_fp8 v[212:215], a[152:153], a[0:1], v[212:215]// 0000000098C4: D3F300D4 1F520198
	buffer_load_dwordx4 a[68:71], v49, s[24:27], 0 offen offset:1024// 0000000098CC: E05C1400 80864431
	v_mfma_f32_16x16x32_fp8_fp8 v[212:215], a[154:155], a[2:3], v[212:215]// 0000000098D4: D3F300D4 1F52059A
	v_mfma_f32_16x16x32_fp8_fp8 v[212:215], a[156:157], a[4:5], v[212:215]// 0000000098DC: D3F300D4 1F52099C
	v_mfma_f32_16x16x32_fp8_fp8 v[212:215], a[158:159], a[6:7], v[212:215]// 0000000098E4: D3F300D4 1F520D9E
	v_mfma_f32_16x16x32_fp8_fp8 v[224:227], a[160:161], a[0:1], v[224:227]// 0000000098EC: D3F300E0 1F8201A0
	buffer_load_dwordx4 a[72:75], v50, s[24:27], 0 offen       // 0000000098F4: E05C1000 80864832
	v_mfma_f32_16x16x32_fp8_fp8 v[224:227], a[162:163], a[2:3], v[224:227]// 0000000098FC: D3F300E0 1F8205A2
	v_mfma_f32_16x16x32_fp8_fp8 v[224:227], a[164:165], a[4:5], v[224:227]// 000000009904: D3F300E0 1F8209A4
	v_mfma_f32_16x16x32_fp8_fp8 v[224:227], a[166:167], a[6:7], v[224:227]// 00000000990C: D3F300E0 1F820DA6
	v_mfma_f32_16x16x32_fp8_fp8 v[236:239], a[168:169], a[0:1], v[236:239]// 000000009914: D3F300EC 1FB201A8
	buffer_load_dwordx4 a[76:79], v50, s[24:27], 0 offen offset:1024// 00000000991C: E05C1400 80864C32
	v_mfma_f32_16x16x32_fp8_fp8 v[236:239], a[170:171], a[2:3], v[236:239]// 000000009924: D3F300EC 1FB205AA
	v_mfma_f32_16x16x32_fp8_fp8 v[236:239], a[172:173], a[4:5], v[236:239]// 00000000992C: D3F300EC 1FB209AC
	v_mfma_f32_16x16x32_fp8_fp8 v[236:239], a[174:175], a[6:7], v[236:239]// 000000009934: D3F300EC 1FB20DAE
	v_mfma_f32_16x16x32_fp8_fp8 v[156:159], a[112:113], a[8:9], v[156:159]// 00000000993C: D3F3009C 1E721170
	buffer_load_dwordx4 a[80:83], v51, s[24:27], 0 offen       // 000000009944: E05C1000 80865033
	v_mfma_f32_16x16x32_fp8_fp8 v[156:159], a[114:115], a[10:11], v[156:159]// 00000000994C: D3F3009C 1E721572
	v_mfma_f32_16x16x32_fp8_fp8 v[156:159], a[116:117], a[12:13], v[156:159]// 000000009954: D3F3009C 1E721974
	v_mfma_f32_16x16x32_fp8_fp8 v[156:159], a[118:119], a[14:15], v[156:159]// 00000000995C: D3F3009C 1E721D76
	v_mfma_f32_16x16x32_fp8_fp8 v[168:171], a[120:121], a[8:9], v[168:171]// 000000009964: D3F300A8 1EA21178
	buffer_load_dwordx4 a[84:87], v51, s[24:27], 0 offen offset:1024// 00000000996C: E05C1400 80865433
	v_mfma_f32_16x16x32_fp8_fp8 v[168:171], a[122:123], a[10:11], v[168:171]// 000000009974: D3F300A8 1EA2157A
	v_mfma_f32_16x16x32_fp8_fp8 v[168:171], a[124:125], a[12:13], v[168:171]// 00000000997C: D3F300A8 1EA2197C
	v_mfma_f32_16x16x32_fp8_fp8 v[168:171], a[126:127], a[14:15], v[168:171]// 000000009984: D3F300A8 1EA21D7E
	v_mfma_f32_16x16x32_fp8_fp8 v[180:183], a[128:129], a[8:9], v[180:183]// 00000000998C: D3F300B4 1ED21180
	buffer_load_dwordx4 a[88:91], v52, s[24:27], 0 offen       // 000000009994: E05C1000 80865834
	v_mfma_f32_16x16x32_fp8_fp8 v[180:183], a[130:131], a[10:11], v[180:183]// 00000000999C: D3F300B4 1ED21582
	v_mfma_f32_16x16x32_fp8_fp8 v[180:183], a[132:133], a[12:13], v[180:183]// 0000000099A4: D3F300B4 1ED21984
	v_mfma_f32_16x16x32_fp8_fp8 v[180:183], a[134:135], a[14:15], v[180:183]// 0000000099AC: D3F300B4 1ED21D86
	v_mfma_f32_16x16x32_fp8_fp8 v[192:195], a[136:137], a[8:9], v[192:195]// 0000000099B4: D3F300C0 1F021188
	buffer_load_dwordx4 a[92:95], v52, s[24:27], 0 offen offset:1024// 0000000099BC: E05C1400 80865C34
	v_mfma_f32_16x16x32_fp8_fp8 v[192:195], a[138:139], a[10:11], v[192:195]// 0000000099C4: D3F300C0 1F02158A
	v_mfma_f32_16x16x32_fp8_fp8 v[192:195], a[140:141], a[12:13], v[192:195]// 0000000099CC: D3F300C0 1F02198C
	v_mfma_f32_16x16x32_fp8_fp8 v[192:195], a[142:143], a[14:15], v[192:195]// 0000000099D4: D3F300C0 1F021D8E
	v_mfma_f32_16x16x32_fp8_fp8 v[204:207], a[144:145], a[8:9], v[204:207]// 0000000099DC: D3F300CC 1F321190
	buffer_load_dwordx4 a[96:99], v53, s[24:27], 0 offen       // 0000000099E4: E05C1000 80866035
	v_mfma_f32_16x16x32_fp8_fp8 v[204:207], a[146:147], a[10:11], v[204:207]// 0000000099EC: D3F300CC 1F321592
	v_mfma_f32_16x16x32_fp8_fp8 v[204:207], a[148:149], a[12:13], v[204:207]// 0000000099F4: D3F300CC 1F321994
	v_mfma_f32_16x16x32_fp8_fp8 v[204:207], a[150:151], a[14:15], v[204:207]// 0000000099FC: D3F300CC 1F321D96
	v_mfma_f32_16x16x32_fp8_fp8 v[216:219], a[152:153], a[8:9], v[216:219]// 000000009A04: D3F300D8 1F621198
	buffer_load_dwordx4 a[100:103], v53, s[24:27], 0 offen offset:1024// 000000009A0C: E05C1400 80866435
	v_mfma_f32_16x16x32_fp8_fp8 v[216:219], a[154:155], a[10:11], v[216:219]// 000000009A14: D3F300D8 1F62159A
	v_mfma_f32_16x16x32_fp8_fp8 v[216:219], a[156:157], a[12:13], v[216:219]// 000000009A1C: D3F300D8 1F62199C
	v_mfma_f32_16x16x32_fp8_fp8 v[216:219], a[158:159], a[14:15], v[216:219]// 000000009A24: D3F300D8 1F621D9E
	v_mfma_f32_16x16x32_fp8_fp8 v[228:231], a[160:161], a[8:9], v[228:231]// 000000009A2C: D3F300E4 1F9211A0
	buffer_load_dwordx4 a[104:107], v54, s[24:27], 0 offen     // 000000009A34: E05C1000 80866836
	v_mfma_f32_16x16x32_fp8_fp8 v[228:231], a[162:163], a[10:11], v[228:231]// 000000009A3C: D3F300E4 1F9215A2
	v_mfma_f32_16x16x32_fp8_fp8 v[228:231], a[164:165], a[12:13], v[228:231]// 000000009A44: D3F300E4 1F9219A4
	v_mfma_f32_16x16x32_fp8_fp8 v[228:231], a[166:167], a[14:15], v[228:231]// 000000009A4C: D3F300E4 1F921DA6
	v_mfma_f32_16x16x32_fp8_fp8 v[240:243], a[168:169], a[8:9], v[240:243]// 000000009A54: D3F300F0 1FC211A8
	buffer_load_dwordx4 a[108:111], v54, s[24:27], 0 offen offset:1024// 000000009A5C: E05C1400 80866C36
	v_mfma_f32_16x16x32_fp8_fp8 v[240:243], a[170:171], a[10:11], v[240:243]// 000000009A64: D3F300F0 1FC215AA
	v_mfma_f32_16x16x32_fp8_fp8 v[240:243], a[172:173], a[12:13], v[240:243]// 000000009A6C: D3F300F0 1FC219AC
	v_mfma_f32_16x16x32_fp8_fp8 v[240:243], a[174:175], a[14:15], v[240:243]// 000000009A74: D3F300F0 1FC21DAE
	v_mfma_f32_16x16x32_fp8_fp8 v[160:163], a[112:113], a[16:17], v[160:163]// 000000009A7C: D3F300A0 1E822170
	v_mfma_f32_16x16x32_fp8_fp8 v[160:163], a[114:115], a[18:19], v[160:163]// 000000009A84: D3F300A0 1E822572
	v_mfma_f32_16x16x32_fp8_fp8 v[160:163], a[116:117], a[20:21], v[160:163]// 000000009A8C: D3F300A0 1E822974
	v_mfma_f32_16x16x32_fp8_fp8 v[160:163], a[118:119], a[22:23], v[160:163]// 000000009A94: D3F300A0 1E822D76
	v_mfma_f32_16x16x32_fp8_fp8 v[172:175], a[120:121], a[16:17], v[172:175]// 000000009A9C: D3F300AC 1EB22178
	v_mfma_f32_16x16x32_fp8_fp8 v[172:175], a[122:123], a[18:19], v[172:175]// 000000009AA4: D3F300AC 1EB2257A
	v_mfma_f32_16x16x32_fp8_fp8 v[172:175], a[124:125], a[20:21], v[172:175]// 000000009AAC: D3F300AC 1EB2297C
	v_mfma_f32_16x16x32_fp8_fp8 v[172:175], a[126:127], a[22:23], v[172:175]// 000000009AB4: D3F300AC 1EB22D7E
	v_mfma_f32_16x16x32_fp8_fp8 v[184:187], a[128:129], a[16:17], v[184:187]// 000000009ABC: D3F300B8 1EE22180
	v_mfma_f32_16x16x32_fp8_fp8 v[184:187], a[130:131], a[18:19], v[184:187]// 000000009AC4: D3F300B8 1EE22582
	v_mfma_f32_16x16x32_fp8_fp8 v[184:187], a[132:133], a[20:21], v[184:187]// 000000009ACC: D3F300B8 1EE22984
	v_mfma_f32_16x16x32_fp8_fp8 v[184:187], a[134:135], a[22:23], v[184:187]// 000000009AD4: D3F300B8 1EE22D86
	v_mfma_f32_16x16x32_fp8_fp8 v[196:199], a[136:137], a[16:17], v[196:199]// 000000009ADC: D3F300C4 1F122188
	v_mfma_f32_16x16x32_fp8_fp8 v[196:199], a[138:139], a[18:19], v[196:199]// 000000009AE4: D3F300C4 1F12258A
	v_mfma_f32_16x16x32_fp8_fp8 v[196:199], a[140:141], a[20:21], v[196:199]// 000000009AEC: D3F300C4 1F12298C
	v_mfma_f32_16x16x32_fp8_fp8 v[196:199], a[142:143], a[22:23], v[196:199]// 000000009AF4: D3F300C4 1F122D8E
	v_mfma_f32_16x16x32_fp8_fp8 v[208:211], a[144:145], a[16:17], v[208:211]// 000000009AFC: D3F300D0 1F422190
	v_mfma_f32_16x16x32_fp8_fp8 v[208:211], a[146:147], a[18:19], v[208:211]// 000000009B04: D3F300D0 1F422592
	v_mfma_f32_16x16x32_fp8_fp8 v[208:211], a[148:149], a[20:21], v[208:211]// 000000009B0C: D3F300D0 1F422994
	v_mfma_f32_16x16x32_fp8_fp8 v[208:211], a[150:151], a[22:23], v[208:211]// 000000009B14: D3F300D0 1F422D96
	v_mfma_f32_16x16x32_fp8_fp8 v[220:223], a[152:153], a[16:17], v[220:223]// 000000009B1C: D3F300DC 1F722198
	v_mfma_f32_16x16x32_fp8_fp8 v[220:223], a[154:155], a[18:19], v[220:223]// 000000009B24: D3F300DC 1F72259A
	v_mfma_f32_16x16x32_fp8_fp8 v[220:223], a[156:157], a[20:21], v[220:223]// 000000009B2C: D3F300DC 1F72299C
	v_mfma_f32_16x16x32_fp8_fp8 v[220:223], a[158:159], a[22:23], v[220:223]// 000000009B34: D3F300DC 1F722D9E
	v_mfma_f32_16x16x32_fp8_fp8 v[232:235], a[160:161], a[16:17], v[232:235]// 000000009B3C: D3F300E8 1FA221A0
	v_mfma_f32_16x16x32_fp8_fp8 v[232:235], a[162:163], a[18:19], v[232:235]// 000000009B44: D3F300E8 1FA225A2
	v_mfma_f32_16x16x32_fp8_fp8 v[232:235], a[164:165], a[20:21], v[232:235]// 000000009B4C: D3F300E8 1FA229A4
	s_add_u32 s60, 0x180, s80                                  // 000000009B54: 803C50FF 00000180
	s_cmp_lt_u32 s60, s81                                      // 000000009B5C: BF0A513C
	s_cselect_b32 s57, s57, 0                                  // 000000009B60: 85398039
	v_mfma_f32_16x16x32_fp8_fp8 v[232:235], a[166:167], a[22:23], v[232:235]// 000000009B64: D3F300E8 1FA22DA6
	s_add_u32 s60, 0x100, s80                                  // 000000009B6C: 803C50FF 00000100
	s_cmp_lt_u32 s60, s81                                      // 000000009B74: BF0A513C
	s_cselect_b32 s58, s58, 0                                  // 000000009B78: 853A803A
	v_mfma_f32_16x16x32_fp8_fp8 v[244:247], a[168:169], a[16:17], v[244:247]// 000000009B7C: D3F300F4 1FD221A8
	s_add_u32 s24, s58, s24                                    // 000000009B84: 8018183A
	s_addc_u32 s25, 0, s25                                     // 000000009B88: 82191980
	v_mfma_f32_16x16x32_fp8_fp8 v[244:247], a[170:171], a[18:19], v[244:247]// 000000009B8C: D3F300F4 1FD225AA
	s_add_u32 s20, s57, s20                                    // 000000009B94: 80141439
	s_addc_u32 s21, 0, s21                                     // 000000009B98: 82151580
	v_mfma_f32_16x16x32_fp8_fp8 v[244:247], a[172:173], a[20:21], v[244:247]// 000000009B9C: D3F300F4 1FD229AC
	s_add_u32 s84, s83, s84                                    // 000000009BA4: 80545453
	s_addc_u32 s85, 0, s85                                     // 000000009BA8: 82555580
	v_mfma_f32_16x16x32_fp8_fp8 v[244:247], a[174:175], a[22:23], v[244:247]// 000000009BAC: D3F300F4 1FD22DAE
	s_addk_i32 s80, 0x80                                       // 000000009BB4: B7500080
	s_cmp_lt_i32 s80, s81                                      // 000000009BB8: BF045150
	s_cbranch_scc0 label_1E76                                  // 000000009BBC: BF840203
	s_waitcnt vmcnt(14) lgkmcnt(0)                             // 000000009BC0: BF8C007E
	s_barrier                                                  // 000000009BC4: BF8A0000
	v_mfma_f32_16x16x32_fp8_fp8 v[56:59], a[48:49], a[24:25], v[56:59]// 000000009BC8: D3F30038 1CE23130
	buffer_load_dwordx4 a[112:115], v47, s[84:87], 0 offen     // 000000009BD0: E05C1000 8095702F
	v_mfma_f32_16x16x32_fp8_fp8 v[56:59], a[50:51], a[26:27], v[56:59]// 000000009BD8: D3F30038 1CE23532
	v_mfma_f32_16x16x32_fp8_fp8 v[56:59], a[52:53], a[28:29], v[56:59]// 000000009BE0: D3F30038 1CE23934
	v_mfma_f32_16x16x32_fp8_fp8 v[56:59], a[54:55], a[30:31], v[56:59]// 000000009BE8: D3F30038 1CE23D36
	v_mfma_f32_16x16x32_fp8_fp8 v[60:63], a[48:49], a[32:33], v[60:63]// 000000009BF0: D3F3003C 1CF24130
	buffer_load_dwordx4 a[116:119], v47, s[84:87], 0 offen offset:1024// 000000009BF8: E05C1400 8095742F
	v_mfma_f32_16x16x32_fp8_fp8 v[60:63], a[50:51], a[34:35], v[60:63]// 000000009C00: D3F3003C 1CF24532
	v_mfma_f32_16x16x32_fp8_fp8 v[60:63], a[52:53], a[36:37], v[60:63]// 000000009C08: D3F3003C 1CF24934
	v_mfma_f32_16x16x32_fp8_fp8 v[60:63], a[54:55], a[38:39], v[60:63]// 000000009C10: D3F3003C 1CF24D36
	v_mfma_f32_16x16x32_fp8_fp8 v[64:67], a[48:49], a[40:41], v[64:67]// 000000009C18: D3F30040 1D025130
	buffer_load_dwordx4 a[120:123], v48, s[84:87], 0 offen     // 000000009C20: E05C1000 80957830
	v_mfma_f32_16x16x32_fp8_fp8 v[64:67], a[50:51], a[42:43], v[64:67]// 000000009C28: D3F30040 1D025532
	v_mfma_f32_16x16x32_fp8_fp8 v[64:67], a[52:53], a[44:45], v[64:67]// 000000009C30: D3F30040 1D025934
	v_mfma_f32_16x16x32_fp8_fp8 v[64:67], a[54:55], a[46:47], v[64:67]// 000000009C38: D3F30040 1D025D36
	s_waitcnt vmcnt(15)                                        // 000000009C40: BF8C0F7F
	v_mfma_f32_16x16x32_fp8_fp8 v[68:71], a[56:57], a[24:25], v[68:71]// 000000009C44: D3F30044 1D123138
	buffer_load_dwordx4 a[124:127], v48, s[84:87], 0 offen offset:1024// 000000009C4C: E05C1400 80957C30
	v_mfma_f32_16x16x32_fp8_fp8 v[68:71], a[58:59], a[26:27], v[68:71]// 000000009C54: D3F30044 1D12353A
	v_mfma_f32_16x16x32_fp8_fp8 v[68:71], a[60:61], a[28:29], v[68:71]// 000000009C5C: D3F30044 1D12393C
	v_mfma_f32_16x16x32_fp8_fp8 v[68:71], a[62:63], a[30:31], v[68:71]// 000000009C64: D3F30044 1D123D3E
	v_mfma_f32_16x16x32_fp8_fp8 v[72:75], a[56:57], a[32:33], v[72:75]// 000000009C6C: D3F30048 1D224138
	buffer_load_dwordx4 a[128:131], v49, s[84:87], 0 offen     // 000000009C74: E05C1000 80958031
	v_mfma_f32_16x16x32_fp8_fp8 v[72:75], a[58:59], a[34:35], v[72:75]// 000000009C7C: D3F30048 1D22453A
	v_mfma_f32_16x16x32_fp8_fp8 v[72:75], a[60:61], a[36:37], v[72:75]// 000000009C84: D3F30048 1D22493C
	v_mfma_f32_16x16x32_fp8_fp8 v[72:75], a[62:63], a[38:39], v[72:75]// 000000009C8C: D3F30048 1D224D3E
	v_mfma_f32_16x16x32_fp8_fp8 v[76:79], a[56:57], a[40:41], v[76:79]// 000000009C94: D3F3004C 1D325138
	buffer_load_dwordx4 a[132:135], v49, s[84:87], 0 offen offset:1024// 000000009C9C: E05C1400 80958431
	v_mfma_f32_16x16x32_fp8_fp8 v[76:79], a[58:59], a[42:43], v[76:79]// 000000009CA4: D3F3004C 1D32553A
	v_mfma_f32_16x16x32_fp8_fp8 v[76:79], a[60:61], a[44:45], v[76:79]// 000000009CAC: D3F3004C 1D32593C
	v_mfma_f32_16x16x32_fp8_fp8 v[76:79], a[62:63], a[46:47], v[76:79]// 000000009CB4: D3F3004C 1D325D3E
	s_waitcnt vmcnt(16)                                        // 000000009CBC: BF8C4F70
	v_mfma_f32_16x16x32_fp8_fp8 v[80:83], a[64:65], a[24:25], v[80:83]// 000000009CC0: D3F30050 1D423140
	buffer_load_dwordx4 a[136:139], v50, s[84:87], 0 offen     // 000000009CC8: E05C1000 80958832
	v_mfma_f32_16x16x32_fp8_fp8 v[80:83], a[66:67], a[26:27], v[80:83]// 000000009CD0: D3F30050 1D423542
	v_mfma_f32_16x16x32_fp8_fp8 v[80:83], a[68:69], a[28:29], v[80:83]// 000000009CD8: D3F30050 1D423944
	v_mfma_f32_16x16x32_fp8_fp8 v[80:83], a[70:71], a[30:31], v[80:83]// 000000009CE0: D3F30050 1D423D46
	v_mfma_f32_16x16x32_fp8_fp8 v[84:87], a[64:65], a[32:33], v[84:87]// 000000009CE8: D3F30054 1D524140
	buffer_load_dwordx4 a[140:143], v50, s[84:87], 0 offen offset:1024// 000000009CF0: E05C1400 80958C32
	v_mfma_f32_16x16x32_fp8_fp8 v[84:87], a[66:67], a[34:35], v[84:87]// 000000009CF8: D3F30054 1D524542
	v_mfma_f32_16x16x32_fp8_fp8 v[84:87], a[68:69], a[36:37], v[84:87]// 000000009D00: D3F30054 1D524944
	v_mfma_f32_16x16x32_fp8_fp8 v[84:87], a[70:71], a[38:39], v[84:87]// 000000009D08: D3F30054 1D524D46
	v_mfma_f32_16x16x32_fp8_fp8 v[88:91], a[64:65], a[40:41], v[88:91]// 000000009D10: D3F30058 1D625140
	buffer_load_dwordx4 a[144:147], v51, s[84:87], 0 offen     // 000000009D18: E05C1000 80959033
	v_mfma_f32_16x16x32_fp8_fp8 v[88:91], a[66:67], a[42:43], v[88:91]// 000000009D20: D3F30058 1D625542
	v_mfma_f32_16x16x32_fp8_fp8 v[88:91], a[68:69], a[44:45], v[88:91]// 000000009D28: D3F30058 1D625944
	v_mfma_f32_16x16x32_fp8_fp8 v[88:91], a[70:71], a[46:47], v[88:91]// 000000009D30: D3F30058 1D625D46
	s_waitcnt vmcnt(17)                                        // 000000009D38: BF8C4F71
	v_mfma_f32_16x16x32_fp8_fp8 v[92:95], a[72:73], a[24:25], v[92:95]// 000000009D3C: D3F3005C 1D723148
	buffer_load_dwordx4 a[148:151], v51, s[84:87], 0 offen offset:1024// 000000009D44: E05C1400 80959433
	v_mfma_f32_16x16x32_fp8_fp8 v[92:95], a[74:75], a[26:27], v[92:95]// 000000009D4C: D3F3005C 1D72354A
	v_mfma_f32_16x16x32_fp8_fp8 v[92:95], a[76:77], a[28:29], v[92:95]// 000000009D54: D3F3005C 1D72394C
	v_mfma_f32_16x16x32_fp8_fp8 v[92:95], a[78:79], a[30:31], v[92:95]// 000000009D5C: D3F3005C 1D723D4E
	v_mfma_f32_16x16x32_fp8_fp8 v[96:99], a[72:73], a[32:33], v[96:99]// 000000009D64: D3F30060 1D824148
	buffer_load_dwordx4 a[152:155], v52, s[84:87], 0 offen     // 000000009D6C: E05C1000 80959834
	v_mfma_f32_16x16x32_fp8_fp8 v[96:99], a[74:75], a[34:35], v[96:99]// 000000009D74: D3F30060 1D82454A
	v_mfma_f32_16x16x32_fp8_fp8 v[96:99], a[76:77], a[36:37], v[96:99]// 000000009D7C: D3F30060 1D82494C
	v_mfma_f32_16x16x32_fp8_fp8 v[96:99], a[78:79], a[38:39], v[96:99]// 000000009D84: D3F30060 1D824D4E
	v_mfma_f32_16x16x32_fp8_fp8 v[100:103], a[72:73], a[40:41], v[100:103]// 000000009D8C: D3F30064 1D925148
	buffer_load_dwordx4 a[156:159], v52, s[84:87], 0 offen offset:1024// 000000009D94: E05C1400 80959C34
	v_mfma_f32_16x16x32_fp8_fp8 v[100:103], a[74:75], a[42:43], v[100:103]// 000000009D9C: D3F30064 1D92554A
	v_mfma_f32_16x16x32_fp8_fp8 v[100:103], a[76:77], a[44:45], v[100:103]// 000000009DA4: D3F30064 1D92594C
	v_mfma_f32_16x16x32_fp8_fp8 v[100:103], a[78:79], a[46:47], v[100:103]// 000000009DAC: D3F30064 1D925D4E
	s_waitcnt vmcnt(18)                                        // 000000009DB4: BF8C4F72
	v_mfma_f32_16x16x32_fp8_fp8 v[104:107], a[80:81], a[24:25], v[104:107]// 000000009DB8: D3F30068 1DA23150
	buffer_load_dwordx4 a[160:163], v53, s[84:87], 0 offen     // 000000009DC0: E05C1000 8095A035
	v_mfma_f32_16x16x32_fp8_fp8 v[104:107], a[82:83], a[26:27], v[104:107]// 000000009DC8: D3F30068 1DA23552
	v_mfma_f32_16x16x32_fp8_fp8 v[104:107], a[84:85], a[28:29], v[104:107]// 000000009DD0: D3F30068 1DA23954
	v_mfma_f32_16x16x32_fp8_fp8 v[104:107], a[86:87], a[30:31], v[104:107]// 000000009DD8: D3F30068 1DA23D56
	v_mfma_f32_16x16x32_fp8_fp8 v[108:111], a[80:81], a[32:33], v[108:111]// 000000009DE0: D3F3006C 1DB24150
	buffer_load_dwordx4 a[164:167], v53, s[84:87], 0 offen offset:1024// 000000009DE8: E05C1400 8095A435
	v_mfma_f32_16x16x32_fp8_fp8 v[108:111], a[82:83], a[34:35], v[108:111]// 000000009DF0: D3F3006C 1DB24552
	v_mfma_f32_16x16x32_fp8_fp8 v[108:111], a[84:85], a[36:37], v[108:111]// 000000009DF8: D3F3006C 1DB24954
	v_mfma_f32_16x16x32_fp8_fp8 v[108:111], a[86:87], a[38:39], v[108:111]// 000000009E00: D3F3006C 1DB24D56
	v_mfma_f32_16x16x32_fp8_fp8 v[112:115], a[80:81], a[40:41], v[112:115]// 000000009E08: D3F30070 1DC25150
	buffer_load_dwordx4 a[168:171], v54, s[84:87], 0 offen     // 000000009E10: E05C1000 8095A836
	v_mfma_f32_16x16x32_fp8_fp8 v[112:115], a[82:83], a[42:43], v[112:115]// 000000009E18: D3F30070 1DC25552
	v_mfma_f32_16x16x32_fp8_fp8 v[112:115], a[84:85], a[44:45], v[112:115]// 000000009E20: D3F30070 1DC25954
	v_mfma_f32_16x16x32_fp8_fp8 v[112:115], a[86:87], a[46:47], v[112:115]// 000000009E28: D3F30070 1DC25D56
	s_waitcnt vmcnt(19)                                        // 000000009E30: BF8C4F73
	v_mfma_f32_16x16x32_fp8_fp8 v[116:119], a[88:89], a[24:25], v[116:119]// 000000009E34: D3F30074 1DD23158
	buffer_load_dwordx4 a[172:175], v54, s[84:87], 0 offen offset:1024// 000000009E3C: E05C1400 8095AC36
	buffer_load_dword v41, s[20:23], 0 offen lds               // 000000009E44: E0511000 80050029
	s_add_u32 m0, 0x100, s49                                   // 000000009E4C: 807C31FF 00000100
	v_mfma_f32_16x16x32_fp8_fp8 v[116:119], a[90:91], a[26:27], v[116:119]// 000000009E54: D3F30074 1DD2355A
	v_mfma_f32_16x16x32_fp8_fp8 v[116:119], a[92:93], a[28:29], v[116:119]// 000000009E5C: D3F30074 1DD2395C
	buffer_load_dword v42, s[20:23], 0 offen lds               // 000000009E64: E0511000 8005002A
	s_add_u32 m0, 0x200, s49                                   // 000000009E6C: 807C31FF 00000200
	v_mfma_f32_16x16x32_fp8_fp8 v[116:119], a[94:95], a[30:31], v[116:119]// 000000009E74: D3F30074 1DD23D5E
	v_mfma_f32_16x16x32_fp8_fp8 v[120:123], a[88:89], a[32:33], v[120:123]// 000000009E7C: D3F30078 1DE24158
	buffer_load_dword v43, s[20:23], 0 offen lds               // 000000009E84: E0511000 8005002B
	s_add_u32 m0, 0x300, s49                                   // 000000009E8C: 807C31FF 00000300
	v_mfma_f32_16x16x32_fp8_fp8 v[120:123], a[90:91], a[34:35], v[120:123]// 000000009E94: D3F30078 1DE2455A
	v_mfma_f32_16x16x32_fp8_fp8 v[120:123], a[92:93], a[36:37], v[120:123]// 000000009E9C: D3F30078 1DE2495C
	buffer_load_dword v44, s[20:23], 0 offen lds               // 000000009EA4: E0511000 8005002C
	s_add_u32 m0, 0x400, s49                                   // 000000009EAC: 807C31FF 00000400
	v_mfma_f32_16x16x32_fp8_fp8 v[120:123], a[94:95], a[38:39], v[120:123]// 000000009EB4: D3F30078 1DE24D5E
	v_mfma_f32_16x16x32_fp8_fp8 v[124:127], a[88:89], a[40:41], v[124:127]// 000000009EBC: D3F3007C 1DF25158
	buffer_load_dword v45, s[20:23], 0 offen lds               // 000000009EC4: E0511000 8005002D
	s_add_u32 m0, 0x500, s49                                   // 000000009ECC: 807C31FF 00000500
	v_mfma_f32_16x16x32_fp8_fp8 v[124:127], a[90:91], a[42:43], v[124:127]// 000000009ED4: D3F3007C 1DF2555A
	v_mfma_f32_16x16x32_fp8_fp8 v[124:127], a[92:93], a[44:45], v[124:127]// 000000009EDC: D3F3007C 1DF2595C
	buffer_load_dword v46, s[20:23], 0 offen lds               // 000000009EE4: E0511000 8005002E
	s_add_u32 m0, 0, s48                                       // 000000009EEC: 807C3080
	v_mfma_f32_16x16x32_fp8_fp8 v[124:127], a[94:95], a[46:47], v[124:127]// 000000009EF0: D3F3007C 1DF25D5E
	s_waitcnt vmcnt(24)                                        // 000000009EF8: BF8C4F78
	v_mfma_f32_16x16x32_fp8_fp8 v[128:131], a[96:97], a[24:25], v[128:131]// 000000009EFC: D3F30080 1E023160
	v_mfma_f32_16x16x32_fp8_fp8 v[128:131], a[98:99], a[26:27], v[128:131]// 000000009F04: D3F30080 1E023562
	v_mfma_f32_16x16x32_fp8_fp8 v[128:131], a[100:101], a[28:29], v[128:131]// 000000009F0C: D3F30080 1E023964
	v_mfma_f32_16x16x32_fp8_fp8 v[128:131], a[102:103], a[30:31], v[128:131]// 000000009F14: D3F30080 1E023D66
	v_mfma_f32_16x16x32_fp8_fp8 v[132:135], a[96:97], a[32:33], v[132:135]// 000000009F1C: D3F30084 1E124160
	v_mfma_f32_16x16x32_fp8_fp8 v[132:135], a[98:99], a[34:35], v[132:135]// 000000009F24: D3F30084 1E124562
	v_mfma_f32_16x16x32_fp8_fp8 v[132:135], a[100:101], a[36:37], v[132:135]// 000000009F2C: D3F30084 1E124964
	v_mfma_f32_16x16x32_fp8_fp8 v[132:135], a[102:103], a[38:39], v[132:135]// 000000009F34: D3F30084 1E124D66
	v_mfma_f32_16x16x32_fp8_fp8 v[136:139], a[96:97], a[40:41], v[136:139]// 000000009F3C: D3F30088 1E225160
	v_mfma_f32_16x16x32_fp8_fp8 v[136:139], a[98:99], a[42:43], v[136:139]// 000000009F44: D3F30088 1E225562
	v_mfma_f32_16x16x32_fp8_fp8 v[136:139], a[100:101], a[44:45], v[136:139]// 000000009F4C: D3F30088 1E225964
	v_mfma_f32_16x16x32_fp8_fp8 v[136:139], a[102:103], a[46:47], v[136:139]// 000000009F54: D3F30088 1E225D66
	s_waitcnt vmcnt(22)                                        // 000000009F5C: BF8C4F76
	v_mfma_f32_16x16x32_fp8_fp8 v[140:143], a[104:105], a[24:25], v[140:143]// 000000009F60: D3F3008C 1E323168
	v_mfma_f32_16x16x32_fp8_fp8 v[140:143], a[106:107], a[26:27], v[140:143]// 000000009F68: D3F3008C 1E32356A
	v_mfma_f32_16x16x32_fp8_fp8 v[140:143], a[108:109], a[28:29], v[140:143]// 000000009F70: D3F3008C 1E32396C
	v_mfma_f32_16x16x32_fp8_fp8 v[140:143], a[110:111], a[30:31], v[140:143]// 000000009F78: D3F3008C 1E323D6E
	v_mfma_f32_16x16x32_fp8_fp8 v[144:147], a[104:105], a[32:33], v[144:147]// 000000009F80: D3F30090 1E424168
	v_mfma_f32_16x16x32_fp8_fp8 v[144:147], a[106:107], a[34:35], v[144:147]// 000000009F88: D3F30090 1E42456A
	v_mfma_f32_16x16x32_fp8_fp8 v[144:147], a[108:109], a[36:37], v[144:147]// 000000009F90: D3F30090 1E42496C
	v_mfma_f32_16x16x32_fp8_fp8 v[144:147], a[110:111], a[38:39], v[144:147]// 000000009F98: D3F30090 1E424D6E
	v_mfma_f32_16x16x32_fp8_fp8 v[148:151], a[104:105], a[40:41], v[148:151]// 000000009FA0: D3F30094 1E525168
	v_mfma_f32_16x16x32_fp8_fp8 v[148:151], a[106:107], a[42:43], v[148:151]// 000000009FA8: D3F30094 1E52556A
	s_add_u32 s60, 0x80, s80                                   // 000000009FB0: 803C50FF 00000080
	s_cmp_lt_u32 s60, s81                                      // 000000009FB8: BF0A513C
	s_cselect_b32 s83, s83, 0                                  // 000000009FBC: 85538053
	v_mfma_f32_16x16x32_fp8_fp8 v[148:151], a[108:109], a[44:45], v[148:151]// 000000009FC0: D3F30094 1E52596C
	v_mfma_f32_16x16x32_fp8_fp8 v[148:151], a[110:111], a[46:47], v[148:151]// 000000009FC8: D3F30094 1E525D6E
	s_waitcnt vmcnt(6)                                         // 000000009FD0: BF8C0F76
	v_mfma_f32_16x16x32_fp8_fp8 v[152:155], a[112:113], a[24:25], v[152:155]// 000000009FD4: D3F30098 1E623170
	buffer_load_dwordx4 a[48:51], v47, s[24:27], 0 offen       // 000000009FDC: E05C1000 8086302F
	v_mfma_f32_16x16x32_fp8_fp8 v[152:155], a[114:115], a[26:27], v[152:155]// 000000009FE4: D3F30098 1E623572
	v_mfma_f32_16x16x32_fp8_fp8 v[152:155], a[116:117], a[28:29], v[152:155]// 000000009FEC: D3F30098 1E623974
	ds_read_b128 a[0:3], v2                                    // 000000009FF4: DBFE0000 00000002
	ds_read_b128 a[4:7], v2 offset:64                          // 000000009FFC: DBFE0040 04000002
	v_mfma_f32_16x16x32_fp8_fp8 v[152:155], a[118:119], a[30:31], v[152:155]// 00000000A004: D3F30098 1E623D76
	v_mfma_f32_16x16x32_fp8_fp8 v[164:167], a[120:121], a[24:25], v[164:167]// 00000000A00C: D3F300A4 1E923178
	buffer_load_dwordx4 a[52:55], v47, s[24:27], 0 offen offset:1024// 00000000A014: E05C1400 8086342F
	v_mfma_f32_16x16x32_fp8_fp8 v[164:167], a[122:123], a[26:27], v[164:167]// 00000000A01C: D3F300A4 1E92357A
	v_mfma_f32_16x16x32_fp8_fp8 v[164:167], a[124:125], a[28:29], v[164:167]// 00000000A024: D3F300A4 1E92397C
	ds_read_b128 a[8:11], v2 offset:512                        // 00000000A02C: DBFE0200 08000002
	ds_read_b128 a[12:15], v2 offset:576                       // 00000000A034: DBFE0240 0C000002
	v_mfma_f32_16x16x32_fp8_fp8 v[164:167], a[126:127], a[30:31], v[164:167]// 00000000A03C: D3F300A4 1E923D7E
	v_mfma_f32_16x16x32_fp8_fp8 v[176:179], a[128:129], a[24:25], v[176:179]// 00000000A044: D3F300B0 1EC23180
	buffer_load_dwordx4 a[56:59], v48, s[24:27], 0 offen       // 00000000A04C: E05C1000 80863830
	v_mfma_f32_16x16x32_fp8_fp8 v[176:179], a[130:131], a[26:27], v[176:179]// 00000000A054: D3F300B0 1EC23582
	v_mfma_f32_16x16x32_fp8_fp8 v[176:179], a[132:133], a[28:29], v[176:179]// 00000000A05C: D3F300B0 1EC23984
	ds_read_b128 a[16:19], v2 offset:1024                      // 00000000A064: DBFE0400 10000002
	ds_read_b128 a[20:23], v2 offset:1088                      // 00000000A06C: DBFE0440 14000002
	v_mfma_f32_16x16x32_fp8_fp8 v[176:179], a[134:135], a[30:31], v[176:179]// 00000000A074: D3F300B0 1EC23D86
	v_mfma_f32_16x16x32_fp8_fp8 v[188:191], a[136:137], a[24:25], v[188:191]// 00000000A07C: D3F300BC 1EF23188
	buffer_load_dwordx4 a[60:63], v48, s[24:27], 0 offen offset:1024// 00000000A084: E05C1400 80863C30
	v_mfma_f32_16x16x32_fp8_fp8 v[188:191], a[138:139], a[26:27], v[188:191]// 00000000A08C: D3F300BC 1EF2358A
	v_mfma_f32_16x16x32_fp8_fp8 v[188:191], a[140:141], a[28:29], v[188:191]// 00000000A094: D3F300BC 1EF2398C
	v_mfma_f32_16x16x32_fp8_fp8 v[188:191], a[142:143], a[30:31], v[188:191]// 00000000A09C: D3F300BC 1EF23D8E
	v_mfma_f32_16x16x32_fp8_fp8 v[200:203], a[144:145], a[24:25], v[200:203]// 00000000A0A4: D3F300C8 1F223190
	buffer_load_dwordx4 a[64:67], v49, s[24:27], 0 offen       // 00000000A0AC: E05C1000 80864031
	v_mfma_f32_16x16x32_fp8_fp8 v[200:203], a[146:147], a[26:27], v[200:203]// 00000000A0B4: D3F300C8 1F223592
	v_mfma_f32_16x16x32_fp8_fp8 v[200:203], a[148:149], a[28:29], v[200:203]// 00000000A0BC: D3F300C8 1F223994
	v_mfma_f32_16x16x32_fp8_fp8 v[200:203], a[150:151], a[30:31], v[200:203]// 00000000A0C4: D3F300C8 1F223D96
	v_mfma_f32_16x16x32_fp8_fp8 v[212:215], a[152:153], a[24:25], v[212:215]// 00000000A0CC: D3F300D4 1F523198
	buffer_load_dwordx4 a[68:71], v49, s[24:27], 0 offen offset:1024// 00000000A0D4: E05C1400 80864431
	v_mfma_f32_16x16x32_fp8_fp8 v[212:215], a[154:155], a[26:27], v[212:215]// 00000000A0DC: D3F300D4 1F52359A
	v_mfma_f32_16x16x32_fp8_fp8 v[212:215], a[156:157], a[28:29], v[212:215]// 00000000A0E4: D3F300D4 1F52399C
	v_mfma_f32_16x16x32_fp8_fp8 v[212:215], a[158:159], a[30:31], v[212:215]// 00000000A0EC: D3F300D4 1F523D9E
	v_mfma_f32_16x16x32_fp8_fp8 v[224:227], a[160:161], a[24:25], v[224:227]// 00000000A0F4: D3F300E0 1F8231A0
	buffer_load_dwordx4 a[72:75], v50, s[24:27], 0 offen       // 00000000A0FC: E05C1000 80864832
	v_mfma_f32_16x16x32_fp8_fp8 v[224:227], a[162:163], a[26:27], v[224:227]// 00000000A104: D3F300E0 1F8235A2
	v_mfma_f32_16x16x32_fp8_fp8 v[224:227], a[164:165], a[28:29], v[224:227]// 00000000A10C: D3F300E0 1F8239A4
	v_mfma_f32_16x16x32_fp8_fp8 v[224:227], a[166:167], a[30:31], v[224:227]// 00000000A114: D3F300E0 1F823DA6
	v_mfma_f32_16x16x32_fp8_fp8 v[236:239], a[168:169], a[24:25], v[236:239]// 00000000A11C: D3F300EC 1FB231A8
	buffer_load_dwordx4 a[76:79], v50, s[24:27], 0 offen offset:1024// 00000000A124: E05C1400 80864C32
	v_mfma_f32_16x16x32_fp8_fp8 v[236:239], a[170:171], a[26:27], v[236:239]// 00000000A12C: D3F300EC 1FB235AA
	v_mfma_f32_16x16x32_fp8_fp8 v[236:239], a[172:173], a[28:29], v[236:239]// 00000000A134: D3F300EC 1FB239AC
	v_mfma_f32_16x16x32_fp8_fp8 v[236:239], a[174:175], a[30:31], v[236:239]// 00000000A13C: D3F300EC 1FB23DAE
	v_mfma_f32_16x16x32_fp8_fp8 v[156:159], a[112:113], a[32:33], v[156:159]// 00000000A144: D3F3009C 1E724170
	buffer_load_dwordx4 a[80:83], v51, s[24:27], 0 offen       // 00000000A14C: E05C1000 80865033
	v_mfma_f32_16x16x32_fp8_fp8 v[156:159], a[114:115], a[34:35], v[156:159]// 00000000A154: D3F3009C 1E724572
	v_mfma_f32_16x16x32_fp8_fp8 v[156:159], a[116:117], a[36:37], v[156:159]// 00000000A15C: D3F3009C 1E724974
	v_mfma_f32_16x16x32_fp8_fp8 v[156:159], a[118:119], a[38:39], v[156:159]// 00000000A164: D3F3009C 1E724D76
	v_mfma_f32_16x16x32_fp8_fp8 v[168:171], a[120:121], a[32:33], v[168:171]// 00000000A16C: D3F300A8 1EA24178
	buffer_load_dwordx4 a[84:87], v51, s[24:27], 0 offen offset:1024// 00000000A174: E05C1400 80865433
	v_mfma_f32_16x16x32_fp8_fp8 v[168:171], a[122:123], a[34:35], v[168:171]// 00000000A17C: D3F300A8 1EA2457A
	v_mfma_f32_16x16x32_fp8_fp8 v[168:171], a[124:125], a[36:37], v[168:171]// 00000000A184: D3F300A8 1EA2497C
	v_mfma_f32_16x16x32_fp8_fp8 v[168:171], a[126:127], a[38:39], v[168:171]// 00000000A18C: D3F300A8 1EA24D7E
	v_mfma_f32_16x16x32_fp8_fp8 v[180:183], a[128:129], a[32:33], v[180:183]// 00000000A194: D3F300B4 1ED24180
	buffer_load_dwordx4 a[88:91], v52, s[24:27], 0 offen       // 00000000A19C: E05C1000 80865834
	v_mfma_f32_16x16x32_fp8_fp8 v[180:183], a[130:131], a[34:35], v[180:183]// 00000000A1A4: D3F300B4 1ED24582
	v_mfma_f32_16x16x32_fp8_fp8 v[180:183], a[132:133], a[36:37], v[180:183]// 00000000A1AC: D3F300B4 1ED24984
	v_mfma_f32_16x16x32_fp8_fp8 v[180:183], a[134:135], a[38:39], v[180:183]// 00000000A1B4: D3F300B4 1ED24D86
	v_mfma_f32_16x16x32_fp8_fp8 v[192:195], a[136:137], a[32:33], v[192:195]// 00000000A1BC: D3F300C0 1F024188
	buffer_load_dwordx4 a[92:95], v52, s[24:27], 0 offen offset:1024// 00000000A1C4: E05C1400 80865C34
	v_mfma_f32_16x16x32_fp8_fp8 v[192:195], a[138:139], a[34:35], v[192:195]// 00000000A1CC: D3F300C0 1F02458A
	v_mfma_f32_16x16x32_fp8_fp8 v[192:195], a[140:141], a[36:37], v[192:195]// 00000000A1D4: D3F300C0 1F02498C
	v_mfma_f32_16x16x32_fp8_fp8 v[192:195], a[142:143], a[38:39], v[192:195]// 00000000A1DC: D3F300C0 1F024D8E
	v_mfma_f32_16x16x32_fp8_fp8 v[204:207], a[144:145], a[32:33], v[204:207]// 00000000A1E4: D3F300CC 1F324190
	buffer_load_dwordx4 a[96:99], v53, s[24:27], 0 offen       // 00000000A1EC: E05C1000 80866035
	v_mfma_f32_16x16x32_fp8_fp8 v[204:207], a[146:147], a[34:35], v[204:207]// 00000000A1F4: D3F300CC 1F324592
	v_mfma_f32_16x16x32_fp8_fp8 v[204:207], a[148:149], a[36:37], v[204:207]// 00000000A1FC: D3F300CC 1F324994
	v_mfma_f32_16x16x32_fp8_fp8 v[204:207], a[150:151], a[38:39], v[204:207]// 00000000A204: D3F300CC 1F324D96
	v_mfma_f32_16x16x32_fp8_fp8 v[216:219], a[152:153], a[32:33], v[216:219]// 00000000A20C: D3F300D8 1F624198
	buffer_load_dwordx4 a[100:103], v53, s[24:27], 0 offen offset:1024// 00000000A214: E05C1400 80866435
	v_mfma_f32_16x16x32_fp8_fp8 v[216:219], a[154:155], a[34:35], v[216:219]// 00000000A21C: D3F300D8 1F62459A
	v_mfma_f32_16x16x32_fp8_fp8 v[216:219], a[156:157], a[36:37], v[216:219]// 00000000A224: D3F300D8 1F62499C
	v_mfma_f32_16x16x32_fp8_fp8 v[216:219], a[158:159], a[38:39], v[216:219]// 00000000A22C: D3F300D8 1F624D9E
	v_mfma_f32_16x16x32_fp8_fp8 v[228:231], a[160:161], a[32:33], v[228:231]// 00000000A234: D3F300E4 1F9241A0
	buffer_load_dwordx4 a[104:107], v54, s[24:27], 0 offen     // 00000000A23C: E05C1000 80866836
	v_mfma_f32_16x16x32_fp8_fp8 v[228:231], a[162:163], a[34:35], v[228:231]// 00000000A244: D3F300E4 1F9245A2
	v_mfma_f32_16x16x32_fp8_fp8 v[228:231], a[164:165], a[36:37], v[228:231]// 00000000A24C: D3F300E4 1F9249A4
	v_mfma_f32_16x16x32_fp8_fp8 v[228:231], a[166:167], a[38:39], v[228:231]// 00000000A254: D3F300E4 1F924DA6
	v_mfma_f32_16x16x32_fp8_fp8 v[240:243], a[168:169], a[32:33], v[240:243]// 00000000A25C: D3F300F0 1FC241A8
	buffer_load_dwordx4 a[108:111], v54, s[24:27], 0 offen offset:1024// 00000000A264: E05C1400 80866C36
	v_mfma_f32_16x16x32_fp8_fp8 v[240:243], a[170:171], a[34:35], v[240:243]// 00000000A26C: D3F300F0 1FC245AA
	v_mfma_f32_16x16x32_fp8_fp8 v[240:243], a[172:173], a[36:37], v[240:243]// 00000000A274: D3F300F0 1FC249AC
	v_mfma_f32_16x16x32_fp8_fp8 v[240:243], a[174:175], a[38:39], v[240:243]// 00000000A27C: D3F300F0 1FC24DAE
	v_mfma_f32_16x16x32_fp8_fp8 v[160:163], a[112:113], a[40:41], v[160:163]// 00000000A284: D3F300A0 1E825170
	v_mfma_f32_16x16x32_fp8_fp8 v[160:163], a[114:115], a[42:43], v[160:163]// 00000000A28C: D3F300A0 1E825572
	v_mfma_f32_16x16x32_fp8_fp8 v[160:163], a[116:117], a[44:45], v[160:163]// 00000000A294: D3F300A0 1E825974
	v_mfma_f32_16x16x32_fp8_fp8 v[160:163], a[118:119], a[46:47], v[160:163]// 00000000A29C: D3F300A0 1E825D76
	v_mfma_f32_16x16x32_fp8_fp8 v[172:175], a[120:121], a[40:41], v[172:175]// 00000000A2A4: D3F300AC 1EB25178
	v_mfma_f32_16x16x32_fp8_fp8 v[172:175], a[122:123], a[42:43], v[172:175]// 00000000A2AC: D3F300AC 1EB2557A
	v_mfma_f32_16x16x32_fp8_fp8 v[172:175], a[124:125], a[44:45], v[172:175]// 00000000A2B4: D3F300AC 1EB2597C
	v_mfma_f32_16x16x32_fp8_fp8 v[172:175], a[126:127], a[46:47], v[172:175]// 00000000A2BC: D3F300AC 1EB25D7E
	v_mfma_f32_16x16x32_fp8_fp8 v[184:187], a[128:129], a[40:41], v[184:187]// 00000000A2C4: D3F300B8 1EE25180
	v_mfma_f32_16x16x32_fp8_fp8 v[184:187], a[130:131], a[42:43], v[184:187]// 00000000A2CC: D3F300B8 1EE25582
	v_mfma_f32_16x16x32_fp8_fp8 v[184:187], a[132:133], a[44:45], v[184:187]// 00000000A2D4: D3F300B8 1EE25984
	v_mfma_f32_16x16x32_fp8_fp8 v[184:187], a[134:135], a[46:47], v[184:187]// 00000000A2DC: D3F300B8 1EE25D86
	v_mfma_f32_16x16x32_fp8_fp8 v[196:199], a[136:137], a[40:41], v[196:199]// 00000000A2E4: D3F300C4 1F125188
	v_mfma_f32_16x16x32_fp8_fp8 v[196:199], a[138:139], a[42:43], v[196:199]// 00000000A2EC: D3F300C4 1F12558A
	v_mfma_f32_16x16x32_fp8_fp8 v[196:199], a[140:141], a[44:45], v[196:199]// 00000000A2F4: D3F300C4 1F12598C
	v_mfma_f32_16x16x32_fp8_fp8 v[196:199], a[142:143], a[46:47], v[196:199]// 00000000A2FC: D3F300C4 1F125D8E
	v_mfma_f32_16x16x32_fp8_fp8 v[208:211], a[144:145], a[40:41], v[208:211]// 00000000A304: D3F300D0 1F425190
	v_mfma_f32_16x16x32_fp8_fp8 v[208:211], a[146:147], a[42:43], v[208:211]// 00000000A30C: D3F300D0 1F425592
	v_mfma_f32_16x16x32_fp8_fp8 v[208:211], a[148:149], a[44:45], v[208:211]// 00000000A314: D3F300D0 1F425994
	v_mfma_f32_16x16x32_fp8_fp8 v[208:211], a[150:151], a[46:47], v[208:211]// 00000000A31C: D3F300D0 1F425D96
	v_mfma_f32_16x16x32_fp8_fp8 v[220:223], a[152:153], a[40:41], v[220:223]// 00000000A324: D3F300DC 1F725198
	v_mfma_f32_16x16x32_fp8_fp8 v[220:223], a[154:155], a[42:43], v[220:223]// 00000000A32C: D3F300DC 1F72559A
	v_mfma_f32_16x16x32_fp8_fp8 v[220:223], a[156:157], a[44:45], v[220:223]// 00000000A334: D3F300DC 1F72599C
	v_mfma_f32_16x16x32_fp8_fp8 v[220:223], a[158:159], a[46:47], v[220:223]// 00000000A33C: D3F300DC 1F725D9E
	v_mfma_f32_16x16x32_fp8_fp8 v[232:235], a[160:161], a[40:41], v[232:235]// 00000000A344: D3F300E8 1FA251A0
	v_mfma_f32_16x16x32_fp8_fp8 v[232:235], a[162:163], a[42:43], v[232:235]// 00000000A34C: D3F300E8 1FA255A2
	v_mfma_f32_16x16x32_fp8_fp8 v[232:235], a[164:165], a[44:45], v[232:235]// 00000000A354: D3F300E8 1FA259A4
	s_add_u32 s60, 0x180, s80                                  // 00000000A35C: 803C50FF 00000180
	s_cmp_lt_u32 s60, s81                                      // 00000000A364: BF0A513C
	s_cselect_b32 s57, s57, 0                                  // 00000000A368: 85398039
	v_mfma_f32_16x16x32_fp8_fp8 v[232:235], a[166:167], a[46:47], v[232:235]// 00000000A36C: D3F300E8 1FA25DA6
	s_add_u32 s60, 0x100, s80                                  // 00000000A374: 803C50FF 00000100
	s_cmp_lt_u32 s60, s81                                      // 00000000A37C: BF0A513C
	s_cselect_b32 s58, s58, 0                                  // 00000000A380: 853A803A
	v_mfma_f32_16x16x32_fp8_fp8 v[244:247], a[168:169], a[40:41], v[244:247]// 00000000A384: D3F300F4 1FD251A8
	s_add_u32 s24, s58, s24                                    // 00000000A38C: 8018183A
	s_addc_u32 s25, 0, s25                                     // 00000000A390: 82191980
	v_mfma_f32_16x16x32_fp8_fp8 v[244:247], a[170:171], a[42:43], v[244:247]// 00000000A394: D3F300F4 1FD255AA
	s_add_u32 s20, s57, s20                                    // 00000000A39C: 80141439
	s_addc_u32 s21, 0, s21                                     // 00000000A3A0: 82151580
	v_mfma_f32_16x16x32_fp8_fp8 v[244:247], a[172:173], a[44:45], v[244:247]// 00000000A3A4: D3F300F4 1FD259AC
	s_add_u32 s84, s83, s84                                    // 00000000A3AC: 80545453
	s_addc_u32 s85, 0, s85                                     // 00000000A3B0: 82555580
	v_mfma_f32_16x16x32_fp8_fp8 v[244:247], a[174:175], a[46:47], v[244:247]// 00000000A3B4: D3F300F4 1FD25DAE
	s_addk_i32 s80, 0x80                                       // 00000000A3BC: B7500080
	s_cmp_lt_i32 s80, s81                                      // 00000000A3C0: BF045150
	s_cbranch_scc0 label_1E76                                  // 00000000A3C4: BF840001
	s_branch label_1A71                                        // 00000000A3C8: BF82FBFB

000000000000a3cc <label_1E76>:
	v_mul_f32_dpp v56, v25, v56 row_newbcast:0 row_mask:0xf bank_mask:0xf// 00000000A3CC: 0A7070FA FF015019
	v_mul_f32_dpp v57, v25, v57 row_newbcast:1 row_mask:0xf bank_mask:0xf// 00000000A3D4: 0A7272FA FF015119
	v_mul_f32_dpp v58, v25, v58 row_newbcast:2 row_mask:0xf bank_mask:0xf// 00000000A3DC: 0A7474FA FF015219
	v_mul_f32_dpp v59, v25, v59 row_newbcast:3 row_mask:0xf bank_mask:0xf// 00000000A3E4: 0A7676FA FF015319
	v_mul_f32_dpp v60, v25, v60 row_newbcast:0 row_mask:0xf bank_mask:0xf// 00000000A3EC: 0A7878FA FF015019
	v_mul_f32_dpp v61, v25, v61 row_newbcast:1 row_mask:0xf bank_mask:0xf// 00000000A3F4: 0A7A7AFA FF015119
	v_mul_f32_dpp v62, v25, v62 row_newbcast:2 row_mask:0xf bank_mask:0xf// 00000000A3FC: 0A7C7CFA FF015219
	v_mul_f32_dpp v63, v25, v63 row_newbcast:3 row_mask:0xf bank_mask:0xf// 00000000A404: 0A7E7EFA FF015319
	v_mul_f32_dpp v64, v25, v64 row_newbcast:0 row_mask:0xf bank_mask:0xf// 00000000A40C: 0A8080FA FF015019
	v_mul_f32_dpp v65, v25, v65 row_newbcast:1 row_mask:0xf bank_mask:0xf// 00000000A414: 0A8282FA FF015119
	v_mul_f32_dpp v66, v25, v66 row_newbcast:2 row_mask:0xf bank_mask:0xf// 00000000A41C: 0A8484FA FF015219
	v_mul_f32_dpp v67, v25, v67 row_newbcast:3 row_mask:0xf bank_mask:0xf// 00000000A424: 0A8686FA FF015319
	v_mul_f32_dpp v68, v25, v68 row_newbcast:4 row_mask:0xf bank_mask:0xf// 00000000A42C: 0A8888FA FF015419
	v_mul_f32_dpp v69, v25, v69 row_newbcast:5 row_mask:0xf bank_mask:0xf// 00000000A434: 0A8A8AFA FF015519
	v_mul_f32_dpp v70, v25, v70 row_newbcast:6 row_mask:0xf bank_mask:0xf// 00000000A43C: 0A8C8CFA FF015619
	v_mul_f32_dpp v71, v25, v71 row_newbcast:7 row_mask:0xf bank_mask:0xf// 00000000A444: 0A8E8EFA FF015719
	v_mul_f32_dpp v72, v25, v72 row_newbcast:4 row_mask:0xf bank_mask:0xf// 00000000A44C: 0A9090FA FF015419
	v_mul_f32_dpp v73, v25, v73 row_newbcast:5 row_mask:0xf bank_mask:0xf// 00000000A454: 0A9292FA FF015519
	v_mul_f32_dpp v74, v25, v74 row_newbcast:6 row_mask:0xf bank_mask:0xf// 00000000A45C: 0A9494FA FF015619
	v_mul_f32_dpp v75, v25, v75 row_newbcast:7 row_mask:0xf bank_mask:0xf// 00000000A464: 0A9696FA FF015719
	v_mul_f32_dpp v76, v25, v76 row_newbcast:4 row_mask:0xf bank_mask:0xf// 00000000A46C: 0A9898FA FF015419
	v_mul_f32_dpp v77, v25, v77 row_newbcast:5 row_mask:0xf bank_mask:0xf// 00000000A474: 0A9A9AFA FF015519
	v_mul_f32_dpp v78, v25, v78 row_newbcast:6 row_mask:0xf bank_mask:0xf// 00000000A47C: 0A9C9CFA FF015619
	v_mul_f32_dpp v79, v25, v79 row_newbcast:7 row_mask:0xf bank_mask:0xf// 00000000A484: 0A9E9EFA FF015719
	v_mul_f32_dpp v80, v25, v80 row_newbcast:8 row_mask:0xf bank_mask:0xf// 00000000A48C: 0AA0A0FA FF015819
	v_mul_f32_dpp v81, v25, v81 row_newbcast:9 row_mask:0xf bank_mask:0xf// 00000000A494: 0AA2A2FA FF015919
	v_mul_f32_dpp v82, v25, v82 row_newbcast:10 row_mask:0xf bank_mask:0xf// 00000000A49C: 0AA4A4FA FF015A19
	v_mul_f32_dpp v83, v25, v83 row_newbcast:11 row_mask:0xf bank_mask:0xf// 00000000A4A4: 0AA6A6FA FF015B19
	v_mul_f32_dpp v84, v25, v84 row_newbcast:8 row_mask:0xf bank_mask:0xf// 00000000A4AC: 0AA8A8FA FF015819
	v_mul_f32_dpp v85, v25, v85 row_newbcast:9 row_mask:0xf bank_mask:0xf// 00000000A4B4: 0AAAAAFA FF015919
	v_mul_f32_dpp v86, v25, v86 row_newbcast:10 row_mask:0xf bank_mask:0xf// 00000000A4BC: 0AACACFA FF015A19
	v_mul_f32_dpp v87, v25, v87 row_newbcast:11 row_mask:0xf bank_mask:0xf// 00000000A4C4: 0AAEAEFA FF015B19
	v_mul_f32_dpp v88, v25, v88 row_newbcast:8 row_mask:0xf bank_mask:0xf// 00000000A4CC: 0AB0B0FA FF015819
	v_mul_f32_dpp v89, v25, v89 row_newbcast:9 row_mask:0xf bank_mask:0xf// 00000000A4D4: 0AB2B2FA FF015919
	v_mul_f32_dpp v90, v25, v90 row_newbcast:10 row_mask:0xf bank_mask:0xf// 00000000A4DC: 0AB4B4FA FF015A19
	v_mul_f32_dpp v91, v25, v91 row_newbcast:11 row_mask:0xf bank_mask:0xf// 00000000A4E4: 0AB6B6FA FF015B19
	v_mul_f32_dpp v92, v25, v92 row_newbcast:12 row_mask:0xf bank_mask:0xf// 00000000A4EC: 0AB8B8FA FF015C19
	v_mul_f32_dpp v93, v25, v93 row_newbcast:13 row_mask:0xf bank_mask:0xf// 00000000A4F4: 0ABABAFA FF015D19
	v_mul_f32_dpp v94, v25, v94 row_newbcast:14 row_mask:0xf bank_mask:0xf// 00000000A4FC: 0ABCBCFA FF015E19
	v_mul_f32_dpp v95, v25, v95 row_newbcast:15 row_mask:0xf bank_mask:0xf// 00000000A504: 0ABEBEFA FF015F19
	v_mul_f32_dpp v96, v25, v96 row_newbcast:12 row_mask:0xf bank_mask:0xf// 00000000A50C: 0AC0C0FA FF015C19
	v_mul_f32_dpp v97, v25, v97 row_newbcast:13 row_mask:0xf bank_mask:0xf// 00000000A514: 0AC2C2FA FF015D19
	v_mul_f32_dpp v98, v25, v98 row_newbcast:14 row_mask:0xf bank_mask:0xf// 00000000A51C: 0AC4C4FA FF015E19
	v_mul_f32_dpp v99, v25, v99 row_newbcast:15 row_mask:0xf bank_mask:0xf// 00000000A524: 0AC6C6FA FF015F19
	v_mul_f32_dpp v100, v25, v100 row_newbcast:12 row_mask:0xf bank_mask:0xf// 00000000A52C: 0AC8C8FA FF015C19
	v_mul_f32_dpp v101, v25, v101 row_newbcast:13 row_mask:0xf bank_mask:0xf// 00000000A534: 0ACACAFA FF015D19
	v_mul_f32_dpp v102, v25, v102 row_newbcast:14 row_mask:0xf bank_mask:0xf// 00000000A53C: 0ACCCCFA FF015E19
	v_mul_f32_dpp v103, v25, v103 row_newbcast:15 row_mask:0xf bank_mask:0xf// 00000000A544: 0ACECEFA FF015F19
	v_mul_f32_dpp v104, v26, v104 row_newbcast:0 row_mask:0xf bank_mask:0xf// 00000000A54C: 0AD0D0FA FF01501A
	v_mul_f32_dpp v105, v26, v105 row_newbcast:1 row_mask:0xf bank_mask:0xf// 00000000A554: 0AD2D2FA FF01511A
	v_mul_f32_dpp v106, v26, v106 row_newbcast:2 row_mask:0xf bank_mask:0xf// 00000000A55C: 0AD4D4FA FF01521A
	v_mul_f32_dpp v107, v26, v107 row_newbcast:3 row_mask:0xf bank_mask:0xf// 00000000A564: 0AD6D6FA FF01531A
	v_mul_f32_dpp v108, v26, v108 row_newbcast:0 row_mask:0xf bank_mask:0xf// 00000000A56C: 0AD8D8FA FF01501A
	v_mul_f32_dpp v109, v26, v109 row_newbcast:1 row_mask:0xf bank_mask:0xf// 00000000A574: 0ADADAFA FF01511A
	v_mul_f32_dpp v110, v26, v110 row_newbcast:2 row_mask:0xf bank_mask:0xf// 00000000A57C: 0ADCDCFA FF01521A
	v_mul_f32_dpp v111, v26, v111 row_newbcast:3 row_mask:0xf bank_mask:0xf// 00000000A584: 0ADEDEFA FF01531A
	v_mul_f32_dpp v112, v26, v112 row_newbcast:0 row_mask:0xf bank_mask:0xf// 00000000A58C: 0AE0E0FA FF01501A
	v_mul_f32_dpp v113, v26, v113 row_newbcast:1 row_mask:0xf bank_mask:0xf// 00000000A594: 0AE2E2FA FF01511A
	v_mul_f32_dpp v114, v26, v114 row_newbcast:2 row_mask:0xf bank_mask:0xf// 00000000A59C: 0AE4E4FA FF01521A
	v_mul_f32_dpp v115, v26, v115 row_newbcast:3 row_mask:0xf bank_mask:0xf// 00000000A5A4: 0AE6E6FA FF01531A
	v_mul_f32_dpp v116, v26, v116 row_newbcast:4 row_mask:0xf bank_mask:0xf// 00000000A5AC: 0AE8E8FA FF01541A
	v_mul_f32_dpp v117, v26, v117 row_newbcast:5 row_mask:0xf bank_mask:0xf// 00000000A5B4: 0AEAEAFA FF01551A
	v_mul_f32_dpp v118, v26, v118 row_newbcast:6 row_mask:0xf bank_mask:0xf// 00000000A5BC: 0AECECFA FF01561A
	v_mul_f32_dpp v119, v26, v119 row_newbcast:7 row_mask:0xf bank_mask:0xf// 00000000A5C4: 0AEEEEFA FF01571A
	v_mul_f32_dpp v120, v26, v120 row_newbcast:4 row_mask:0xf bank_mask:0xf// 00000000A5CC: 0AF0F0FA FF01541A
	v_mul_f32_dpp v121, v26, v121 row_newbcast:5 row_mask:0xf bank_mask:0xf// 00000000A5D4: 0AF2F2FA FF01551A
	v_mul_f32_dpp v122, v26, v122 row_newbcast:6 row_mask:0xf bank_mask:0xf// 00000000A5DC: 0AF4F4FA FF01561A
	v_mul_f32_dpp v123, v26, v123 row_newbcast:7 row_mask:0xf bank_mask:0xf// 00000000A5E4: 0AF6F6FA FF01571A
	v_mul_f32_dpp v124, v26, v124 row_newbcast:4 row_mask:0xf bank_mask:0xf// 00000000A5EC: 0AF8F8FA FF01541A
	v_mul_f32_dpp v125, v26, v125 row_newbcast:5 row_mask:0xf bank_mask:0xf// 00000000A5F4: 0AFAFAFA FF01551A
	v_mul_f32_dpp v126, v26, v126 row_newbcast:6 row_mask:0xf bank_mask:0xf// 00000000A5FC: 0AFCFCFA FF01561A
	v_mul_f32_dpp v127, v26, v127 row_newbcast:7 row_mask:0xf bank_mask:0xf// 00000000A604: 0AFEFEFA FF01571A
	v_mul_f32_dpp v128, v26, v128 row_newbcast:8 row_mask:0xf bank_mask:0xf// 00000000A60C: 0B0100FA FF01581A
	v_mul_f32_dpp v129, v26, v129 row_newbcast:9 row_mask:0xf bank_mask:0xf// 00000000A614: 0B0302FA FF01591A
	v_mul_f32_dpp v130, v26, v130 row_newbcast:10 row_mask:0xf bank_mask:0xf// 00000000A61C: 0B0504FA FF015A1A
	v_mul_f32_dpp v131, v26, v131 row_newbcast:11 row_mask:0xf bank_mask:0xf// 00000000A624: 0B0706FA FF015B1A
	v_mul_f32_dpp v132, v26, v132 row_newbcast:8 row_mask:0xf bank_mask:0xf// 00000000A62C: 0B0908FA FF01581A
	v_mul_f32_dpp v133, v26, v133 row_newbcast:9 row_mask:0xf bank_mask:0xf// 00000000A634: 0B0B0AFA FF01591A
	v_mul_f32_dpp v134, v26, v134 row_newbcast:10 row_mask:0xf bank_mask:0xf// 00000000A63C: 0B0D0CFA FF015A1A
	v_mul_f32_dpp v135, v26, v135 row_newbcast:11 row_mask:0xf bank_mask:0xf// 00000000A644: 0B0F0EFA FF015B1A
	v_mul_f32_dpp v136, v26, v136 row_newbcast:8 row_mask:0xf bank_mask:0xf// 00000000A64C: 0B1110FA FF01581A
	v_mul_f32_dpp v137, v26, v137 row_newbcast:9 row_mask:0xf bank_mask:0xf// 00000000A654: 0B1312FA FF01591A
	v_mul_f32_dpp v138, v26, v138 row_newbcast:10 row_mask:0xf bank_mask:0xf// 00000000A65C: 0B1514FA FF015A1A
	v_mul_f32_dpp v139, v26, v139 row_newbcast:11 row_mask:0xf bank_mask:0xf// 00000000A664: 0B1716FA FF015B1A
	v_mul_f32_dpp v140, v26, v140 row_newbcast:12 row_mask:0xf bank_mask:0xf// 00000000A66C: 0B1918FA FF015C1A
	v_mul_f32_dpp v141, v26, v141 row_newbcast:13 row_mask:0xf bank_mask:0xf// 00000000A674: 0B1B1AFA FF015D1A
	v_mul_f32_dpp v142, v26, v142 row_newbcast:14 row_mask:0xf bank_mask:0xf// 00000000A67C: 0B1D1CFA FF015E1A
	v_mul_f32_dpp v143, v26, v143 row_newbcast:15 row_mask:0xf bank_mask:0xf// 00000000A684: 0B1F1EFA FF015F1A
	v_mul_f32_dpp v144, v26, v144 row_newbcast:12 row_mask:0xf bank_mask:0xf// 00000000A68C: 0B2120FA FF015C1A
	v_mul_f32_dpp v145, v26, v145 row_newbcast:13 row_mask:0xf bank_mask:0xf// 00000000A694: 0B2322FA FF015D1A
	v_mul_f32_dpp v146, v26, v146 row_newbcast:14 row_mask:0xf bank_mask:0xf// 00000000A69C: 0B2524FA FF015E1A
	v_mul_f32_dpp v147, v26, v147 row_newbcast:15 row_mask:0xf bank_mask:0xf// 00000000A6A4: 0B2726FA FF015F1A
	v_mul_f32_dpp v148, v26, v148 row_newbcast:12 row_mask:0xf bank_mask:0xf// 00000000A6AC: 0B2928FA FF015C1A
	v_mul_f32_dpp v149, v26, v149 row_newbcast:13 row_mask:0xf bank_mask:0xf// 00000000A6B4: 0B2B2AFA FF015D1A
	v_mul_f32_dpp v150, v26, v150 row_newbcast:14 row_mask:0xf bank_mask:0xf// 00000000A6BC: 0B2D2CFA FF015E1A
	v_mul_f32_dpp v151, v26, v151 row_newbcast:15 row_mask:0xf bank_mask:0xf// 00000000A6C4: 0B2F2EFA FF015F1A
	v_mul_f32_dpp v152, v27, v152 row_newbcast:0 row_mask:0xf bank_mask:0xf// 00000000A6CC: 0B3130FA FF01501B
	v_mul_f32_dpp v153, v27, v153 row_newbcast:1 row_mask:0xf bank_mask:0xf// 00000000A6D4: 0B3332FA FF01511B
	v_mul_f32_dpp v154, v27, v154 row_newbcast:2 row_mask:0xf bank_mask:0xf// 00000000A6DC: 0B3534FA FF01521B
	v_mul_f32_dpp v155, v27, v155 row_newbcast:3 row_mask:0xf bank_mask:0xf// 00000000A6E4: 0B3736FA FF01531B
	v_mul_f32_dpp v156, v27, v156 row_newbcast:0 row_mask:0xf bank_mask:0xf// 00000000A6EC: 0B3938FA FF01501B
	v_mul_f32_dpp v157, v27, v157 row_newbcast:1 row_mask:0xf bank_mask:0xf// 00000000A6F4: 0B3B3AFA FF01511B
	v_mul_f32_dpp v158, v27, v158 row_newbcast:2 row_mask:0xf bank_mask:0xf// 00000000A6FC: 0B3D3CFA FF01521B
	v_mul_f32_dpp v159, v27, v159 row_newbcast:3 row_mask:0xf bank_mask:0xf// 00000000A704: 0B3F3EFA FF01531B
	v_mul_f32_dpp v160, v27, v160 row_newbcast:0 row_mask:0xf bank_mask:0xf// 00000000A70C: 0B4140FA FF01501B
	v_mul_f32_dpp v161, v27, v161 row_newbcast:1 row_mask:0xf bank_mask:0xf// 00000000A714: 0B4342FA FF01511B
	v_mul_f32_dpp v162, v27, v162 row_newbcast:2 row_mask:0xf bank_mask:0xf// 00000000A71C: 0B4544FA FF01521B
	v_mul_f32_dpp v163, v27, v163 row_newbcast:3 row_mask:0xf bank_mask:0xf// 00000000A724: 0B4746FA FF01531B
	v_mul_f32_dpp v164, v27, v164 row_newbcast:4 row_mask:0xf bank_mask:0xf// 00000000A72C: 0B4948FA FF01541B
	v_mul_f32_dpp v165, v27, v165 row_newbcast:5 row_mask:0xf bank_mask:0xf// 00000000A734: 0B4B4AFA FF01551B
	v_mul_f32_dpp v166, v27, v166 row_newbcast:6 row_mask:0xf bank_mask:0xf// 00000000A73C: 0B4D4CFA FF01561B
	v_mul_f32_dpp v167, v27, v167 row_newbcast:7 row_mask:0xf bank_mask:0xf// 00000000A744: 0B4F4EFA FF01571B
	v_mul_f32_dpp v168, v27, v168 row_newbcast:4 row_mask:0xf bank_mask:0xf// 00000000A74C: 0B5150FA FF01541B
	v_mul_f32_dpp v169, v27, v169 row_newbcast:5 row_mask:0xf bank_mask:0xf// 00000000A754: 0B5352FA FF01551B
	v_mul_f32_dpp v170, v27, v170 row_newbcast:6 row_mask:0xf bank_mask:0xf// 00000000A75C: 0B5554FA FF01561B
	v_mul_f32_dpp v171, v27, v171 row_newbcast:7 row_mask:0xf bank_mask:0xf// 00000000A764: 0B5756FA FF01571B
	v_mul_f32_dpp v172, v27, v172 row_newbcast:4 row_mask:0xf bank_mask:0xf// 00000000A76C: 0B5958FA FF01541B
	v_mul_f32_dpp v173, v27, v173 row_newbcast:5 row_mask:0xf bank_mask:0xf// 00000000A774: 0B5B5AFA FF01551B
	v_mul_f32_dpp v174, v27, v174 row_newbcast:6 row_mask:0xf bank_mask:0xf// 00000000A77C: 0B5D5CFA FF01561B
	v_mul_f32_dpp v175, v27, v175 row_newbcast:7 row_mask:0xf bank_mask:0xf// 00000000A784: 0B5F5EFA FF01571B
	v_mul_f32_dpp v176, v27, v176 row_newbcast:8 row_mask:0xf bank_mask:0xf// 00000000A78C: 0B6160FA FF01581B
	v_mul_f32_dpp v177, v27, v177 row_newbcast:9 row_mask:0xf bank_mask:0xf// 00000000A794: 0B6362FA FF01591B
	v_mul_f32_dpp v178, v27, v178 row_newbcast:10 row_mask:0xf bank_mask:0xf// 00000000A79C: 0B6564FA FF015A1B
	v_mul_f32_dpp v179, v27, v179 row_newbcast:11 row_mask:0xf bank_mask:0xf// 00000000A7A4: 0B6766FA FF015B1B
	v_mul_f32_dpp v180, v27, v180 row_newbcast:8 row_mask:0xf bank_mask:0xf// 00000000A7AC: 0B6968FA FF01581B
	v_mul_f32_dpp v181, v27, v181 row_newbcast:9 row_mask:0xf bank_mask:0xf// 00000000A7B4: 0B6B6AFA FF01591B
	v_mul_f32_dpp v182, v27, v182 row_newbcast:10 row_mask:0xf bank_mask:0xf// 00000000A7BC: 0B6D6CFA FF015A1B
	v_mul_f32_dpp v183, v27, v183 row_newbcast:11 row_mask:0xf bank_mask:0xf// 00000000A7C4: 0B6F6EFA FF015B1B
	v_mul_f32_dpp v184, v27, v184 row_newbcast:8 row_mask:0xf bank_mask:0xf// 00000000A7CC: 0B7170FA FF01581B
	v_mul_f32_dpp v185, v27, v185 row_newbcast:9 row_mask:0xf bank_mask:0xf// 00000000A7D4: 0B7372FA FF01591B
	v_mul_f32_dpp v186, v27, v186 row_newbcast:10 row_mask:0xf bank_mask:0xf// 00000000A7DC: 0B7574FA FF015A1B
	v_mul_f32_dpp v187, v27, v187 row_newbcast:11 row_mask:0xf bank_mask:0xf// 00000000A7E4: 0B7776FA FF015B1B
	v_mul_f32_dpp v188, v27, v188 row_newbcast:12 row_mask:0xf bank_mask:0xf// 00000000A7EC: 0B7978FA FF015C1B
	v_mul_f32_dpp v189, v27, v189 row_newbcast:13 row_mask:0xf bank_mask:0xf// 00000000A7F4: 0B7B7AFA FF015D1B
	v_mul_f32_dpp v190, v27, v190 row_newbcast:14 row_mask:0xf bank_mask:0xf// 00000000A7FC: 0B7D7CFA FF015E1B
	v_mul_f32_dpp v191, v27, v191 row_newbcast:15 row_mask:0xf bank_mask:0xf// 00000000A804: 0B7F7EFA FF015F1B
	v_mul_f32_dpp v192, v27, v192 row_newbcast:12 row_mask:0xf bank_mask:0xf// 00000000A80C: 0B8180FA FF015C1B
	v_mul_f32_dpp v193, v27, v193 row_newbcast:13 row_mask:0xf bank_mask:0xf// 00000000A814: 0B8382FA FF015D1B
	v_mul_f32_dpp v194, v27, v194 row_newbcast:14 row_mask:0xf bank_mask:0xf// 00000000A81C: 0B8584FA FF015E1B
	v_mul_f32_dpp v195, v27, v195 row_newbcast:15 row_mask:0xf bank_mask:0xf// 00000000A824: 0B8786FA FF015F1B
	v_mul_f32_dpp v196, v27, v196 row_newbcast:12 row_mask:0xf bank_mask:0xf// 00000000A82C: 0B8988FA FF015C1B
	v_mul_f32_dpp v197, v27, v197 row_newbcast:13 row_mask:0xf bank_mask:0xf// 00000000A834: 0B8B8AFA FF015D1B
	v_mul_f32_dpp v198, v27, v198 row_newbcast:14 row_mask:0xf bank_mask:0xf// 00000000A83C: 0B8D8CFA FF015E1B
	v_mul_f32_dpp v199, v27, v199 row_newbcast:15 row_mask:0xf bank_mask:0xf// 00000000A844: 0B8F8EFA FF015F1B
	v_mul_f32_dpp v200, v28, v200 row_newbcast:0 row_mask:0xf bank_mask:0xf// 00000000A84C: 0B9190FA FF01501C
	v_mul_f32_dpp v201, v28, v201 row_newbcast:1 row_mask:0xf bank_mask:0xf// 00000000A854: 0B9392FA FF01511C
	v_mul_f32_dpp v202, v28, v202 row_newbcast:2 row_mask:0xf bank_mask:0xf// 00000000A85C: 0B9594FA FF01521C
	v_mul_f32_dpp v203, v28, v203 row_newbcast:3 row_mask:0xf bank_mask:0xf// 00000000A864: 0B9796FA FF01531C
	v_mul_f32_dpp v204, v28, v204 row_newbcast:0 row_mask:0xf bank_mask:0xf// 00000000A86C: 0B9998FA FF01501C
	v_mul_f32_dpp v205, v28, v205 row_newbcast:1 row_mask:0xf bank_mask:0xf// 00000000A874: 0B9B9AFA FF01511C
	v_mul_f32_dpp v206, v28, v206 row_newbcast:2 row_mask:0xf bank_mask:0xf// 00000000A87C: 0B9D9CFA FF01521C
	v_mul_f32_dpp v207, v28, v207 row_newbcast:3 row_mask:0xf bank_mask:0xf// 00000000A884: 0B9F9EFA FF01531C
	v_mul_f32_dpp v208, v28, v208 row_newbcast:0 row_mask:0xf bank_mask:0xf// 00000000A88C: 0BA1A0FA FF01501C
	v_mul_f32_dpp v209, v28, v209 row_newbcast:1 row_mask:0xf bank_mask:0xf// 00000000A894: 0BA3A2FA FF01511C
	v_mul_f32_dpp v210, v28, v210 row_newbcast:2 row_mask:0xf bank_mask:0xf// 00000000A89C: 0BA5A4FA FF01521C
	v_mul_f32_dpp v211, v28, v211 row_newbcast:3 row_mask:0xf bank_mask:0xf// 00000000A8A4: 0BA7A6FA FF01531C
	v_mul_f32_dpp v212, v28, v212 row_newbcast:4 row_mask:0xf bank_mask:0xf// 00000000A8AC: 0BA9A8FA FF01541C
	v_mul_f32_dpp v213, v28, v213 row_newbcast:5 row_mask:0xf bank_mask:0xf// 00000000A8B4: 0BABAAFA FF01551C
	v_mul_f32_dpp v214, v28, v214 row_newbcast:6 row_mask:0xf bank_mask:0xf// 00000000A8BC: 0BADACFA FF01561C
	v_mul_f32_dpp v215, v28, v215 row_newbcast:7 row_mask:0xf bank_mask:0xf// 00000000A8C4: 0BAFAEFA FF01571C
	v_mul_f32_dpp v216, v28, v216 row_newbcast:4 row_mask:0xf bank_mask:0xf// 00000000A8CC: 0BB1B0FA FF01541C
	v_mul_f32_dpp v217, v28, v217 row_newbcast:5 row_mask:0xf bank_mask:0xf// 00000000A8D4: 0BB3B2FA FF01551C
	v_mul_f32_dpp v218, v28, v218 row_newbcast:6 row_mask:0xf bank_mask:0xf// 00000000A8DC: 0BB5B4FA FF01561C
	v_mul_f32_dpp v219, v28, v219 row_newbcast:7 row_mask:0xf bank_mask:0xf// 00000000A8E4: 0BB7B6FA FF01571C
	v_mul_f32_dpp v220, v28, v220 row_newbcast:4 row_mask:0xf bank_mask:0xf// 00000000A8EC: 0BB9B8FA FF01541C
	v_mul_f32_dpp v221, v28, v221 row_newbcast:5 row_mask:0xf bank_mask:0xf// 00000000A8F4: 0BBBBAFA FF01551C
	v_mul_f32_dpp v222, v28, v222 row_newbcast:6 row_mask:0xf bank_mask:0xf// 00000000A8FC: 0BBDBCFA FF01561C
	v_mul_f32_dpp v223, v28, v223 row_newbcast:7 row_mask:0xf bank_mask:0xf// 00000000A904: 0BBFBEFA FF01571C
	v_mul_f32_dpp v224, v28, v224 row_newbcast:8 row_mask:0xf bank_mask:0xf// 00000000A90C: 0BC1C0FA FF01581C
	v_mul_f32_dpp v225, v28, v225 row_newbcast:9 row_mask:0xf bank_mask:0xf// 00000000A914: 0BC3C2FA FF01591C
	v_mul_f32_dpp v226, v28, v226 row_newbcast:10 row_mask:0xf bank_mask:0xf// 00000000A91C: 0BC5C4FA FF015A1C
	v_mul_f32_dpp v227, v28, v227 row_newbcast:11 row_mask:0xf bank_mask:0xf// 00000000A924: 0BC7C6FA FF015B1C
	v_mul_f32_dpp v228, v28, v228 row_newbcast:8 row_mask:0xf bank_mask:0xf// 00000000A92C: 0BC9C8FA FF01581C
	v_mul_f32_dpp v229, v28, v229 row_newbcast:9 row_mask:0xf bank_mask:0xf// 00000000A934: 0BCBCAFA FF01591C
	v_mul_f32_dpp v230, v28, v230 row_newbcast:10 row_mask:0xf bank_mask:0xf// 00000000A93C: 0BCDCCFA FF015A1C
	v_mul_f32_dpp v231, v28, v231 row_newbcast:11 row_mask:0xf bank_mask:0xf// 00000000A944: 0BCFCEFA FF015B1C
	v_mul_f32_dpp v232, v28, v232 row_newbcast:8 row_mask:0xf bank_mask:0xf// 00000000A94C: 0BD1D0FA FF01581C
	v_mul_f32_dpp v233, v28, v233 row_newbcast:9 row_mask:0xf bank_mask:0xf// 00000000A954: 0BD3D2FA FF01591C
	v_mul_f32_dpp v234, v28, v234 row_newbcast:10 row_mask:0xf bank_mask:0xf// 00000000A95C: 0BD5D4FA FF015A1C
	v_mul_f32_dpp v235, v28, v235 row_newbcast:11 row_mask:0xf bank_mask:0xf// 00000000A964: 0BD7D6FA FF015B1C
	v_mul_f32_dpp v236, v28, v236 row_newbcast:12 row_mask:0xf bank_mask:0xf// 00000000A96C: 0BD9D8FA FF015C1C
	v_mul_f32_dpp v237, v28, v237 row_newbcast:13 row_mask:0xf bank_mask:0xf// 00000000A974: 0BDBDAFA FF015D1C
	v_mul_f32_dpp v238, v28, v238 row_newbcast:14 row_mask:0xf bank_mask:0xf// 00000000A97C: 0BDDDCFA FF015E1C
	v_mul_f32_dpp v239, v28, v239 row_newbcast:15 row_mask:0xf bank_mask:0xf// 00000000A984: 0BDFDEFA FF015F1C
	v_mul_f32_dpp v240, v28, v240 row_newbcast:12 row_mask:0xf bank_mask:0xf// 00000000A98C: 0BE1E0FA FF015C1C
	v_mul_f32_dpp v241, v28, v241 row_newbcast:13 row_mask:0xf bank_mask:0xf// 00000000A994: 0BE3E2FA FF015D1C
	v_mul_f32_dpp v242, v28, v242 row_newbcast:14 row_mask:0xf bank_mask:0xf// 00000000A99C: 0BE5E4FA FF015E1C
	v_mul_f32_dpp v243, v28, v243 row_newbcast:15 row_mask:0xf bank_mask:0xf// 00000000A9A4: 0BE7E6FA FF015F1C
	v_mul_f32_dpp v244, v28, v244 row_newbcast:12 row_mask:0xf bank_mask:0xf// 00000000A9AC: 0BE9E8FA FF015C1C
	v_mul_f32_dpp v245, v28, v245 row_newbcast:13 row_mask:0xf bank_mask:0xf// 00000000A9B4: 0BEBEAFA FF015D1C
	v_mul_f32_dpp v246, v28, v246 row_newbcast:14 row_mask:0xf bank_mask:0xf// 00000000A9BC: 0BEDECFA FF015E1C
	v_mul_f32_dpp v247, v28, v247 row_newbcast:15 row_mask:0xf bank_mask:0xf// 00000000A9C4: 0BEFEEFA FF015F1C
	v_mul_f32_e32 v32, v32, v248                               // 00000000A9CC: 0A41F120
	v_mov_b32_e32 v4, v32                                      // 00000000A9D0: 7E080320
	v_mov_b32_e32 v5, v4                                       // 00000000A9D4: 7E0A0304
	v_pk_mul_f32 v[56:57], v[4:5], v[56:57]                    // 00000000A9D8: D3B14038 18027104
	v_pk_mul_f32 v[152:153], v[4:5], v[152:153]                // 00000000A9E0: D3B14098 18033104
	v_pk_mul_f32 v[58:59], v[4:5], v[58:59]                    // 00000000A9E8: D3B1403A 18027504
	v_pk_mul_f32 v[154:155], v[4:5], v[154:155]                // 00000000A9F0: D3B1409A 18033504
	v_pk_mul_f32 v[68:69], v[4:5], v[68:69]                    // 00000000A9F8: D3B14044 18028904
	v_pk_mul_f32 v[164:165], v[4:5], v[164:165]                // 00000000AA00: D3B140A4 18034904
	v_pk_mul_f32 v[70:71], v[4:5], v[70:71]                    // 00000000AA08: D3B14046 18028D04
	v_pk_mul_f32 v[166:167], v[4:5], v[166:167]                // 00000000AA10: D3B140A6 18034D04
	v_pk_mul_f32 v[80:81], v[4:5], v[80:81]                    // 00000000AA18: D3B14050 1802A104
	v_pk_mul_f32 v[176:177], v[4:5], v[176:177]                // 00000000AA20: D3B140B0 18036104
	v_pk_mul_f32 v[82:83], v[4:5], v[82:83]                    // 00000000AA28: D3B14052 1802A504
	v_pk_mul_f32 v[178:179], v[4:5], v[178:179]                // 00000000AA30: D3B140B2 18036504
	v_pk_mul_f32 v[92:93], v[4:5], v[92:93]                    // 00000000AA38: D3B1405C 1802B904
	v_pk_mul_f32 v[188:189], v[4:5], v[188:189]                // 00000000AA40: D3B140BC 18037904
	v_pk_mul_f32 v[94:95], v[4:5], v[94:95]                    // 00000000AA48: D3B1405E 1802BD04
	v_pk_mul_f32 v[190:191], v[4:5], v[190:191]                // 00000000AA50: D3B140BE 18037D04
	v_pk_mul_f32 v[104:105], v[4:5], v[104:105]                // 00000000AA58: D3B14068 1802D104
	v_pk_mul_f32 v[200:201], v[4:5], v[200:201]                // 00000000AA60: D3B140C8 18039104
	v_pk_mul_f32 v[106:107], v[4:5], v[106:107]                // 00000000AA68: D3B1406A 1802D504
	v_pk_mul_f32 v[202:203], v[4:5], v[202:203]                // 00000000AA70: D3B140CA 18039504
	v_pk_mul_f32 v[116:117], v[4:5], v[116:117]                // 00000000AA78: D3B14074 1802E904
	v_pk_mul_f32 v[212:213], v[4:5], v[212:213]                // 00000000AA80: D3B140D4 1803A904
	v_pk_mul_f32 v[118:119], v[4:5], v[118:119]                // 00000000AA88: D3B14076 1802ED04
	v_pk_mul_f32 v[214:215], v[4:5], v[214:215]                // 00000000AA90: D3B140D6 1803AD04
	v_pk_mul_f32 v[128:129], v[4:5], v[128:129]                // 00000000AA98: D3B14080 18030104
	v_pk_mul_f32 v[224:225], v[4:5], v[224:225]                // 00000000AAA0: D3B140E0 1803C104
	v_pk_mul_f32 v[130:131], v[4:5], v[130:131]                // 00000000AAA8: D3B14082 18030504
	v_pk_mul_f32 v[226:227], v[4:5], v[226:227]                // 00000000AAB0: D3B140E2 1803C504
	v_pk_mul_f32 v[140:141], v[4:5], v[140:141]                // 00000000AAB8: D3B1408C 18031904
	v_pk_mul_f32 v[236:237], v[4:5], v[236:237]                // 00000000AAC0: D3B140EC 1803D904
	v_pk_mul_f32 v[142:143], v[4:5], v[142:143]                // 00000000AAC8: D3B1408E 18031D04
	v_pk_mul_f32 v[238:239], v[4:5], v[238:239]                // 00000000AAD0: D3B140EE 1803DD04
	v_mul_f32_e32 v33, v33, v249                               // 00000000AAD8: 0A43F321
	v_mov_b32_e32 v4, v33                                      // 00000000AADC: 7E080321
	v_mov_b32_e32 v5, v4                                       // 00000000AAE0: 7E0A0304
	v_pk_mul_f32 v[60:61], v[4:5], v[60:61]                    // 00000000AAE4: D3B1403C 18027904
	v_pk_mul_f32 v[156:157], v[4:5], v[156:157]                // 00000000AAEC: D3B1409C 18033904
	v_pk_mul_f32 v[62:63], v[4:5], v[62:63]                    // 00000000AAF4: D3B1403E 18027D04
	v_pk_mul_f32 v[158:159], v[4:5], v[158:159]                // 00000000AAFC: D3B1409E 18033D04
	v_pk_mul_f32 v[72:73], v[4:5], v[72:73]                    // 00000000AB04: D3B14048 18029104
	v_pk_mul_f32 v[168:169], v[4:5], v[168:169]                // 00000000AB0C: D3B140A8 18035104
	v_pk_mul_f32 v[74:75], v[4:5], v[74:75]                    // 00000000AB14: D3B1404A 18029504
	v_pk_mul_f32 v[170:171], v[4:5], v[170:171]                // 00000000AB1C: D3B140AA 18035504
	v_pk_mul_f32 v[84:85], v[4:5], v[84:85]                    // 00000000AB24: D3B14054 1802A904
	v_pk_mul_f32 v[180:181], v[4:5], v[180:181]                // 00000000AB2C: D3B140B4 18036904
	v_pk_mul_f32 v[86:87], v[4:5], v[86:87]                    // 00000000AB34: D3B14056 1802AD04
	v_pk_mul_f32 v[182:183], v[4:5], v[182:183]                // 00000000AB3C: D3B140B6 18036D04
	v_pk_mul_f32 v[96:97], v[4:5], v[96:97]                    // 00000000AB44: D3B14060 1802C104
	v_pk_mul_f32 v[192:193], v[4:5], v[192:193]                // 00000000AB4C: D3B140C0 18038104
	v_pk_mul_f32 v[98:99], v[4:5], v[98:99]                    // 00000000AB54: D3B14062 1802C504
	v_pk_mul_f32 v[194:195], v[4:5], v[194:195]                // 00000000AB5C: D3B140C2 18038504
	v_pk_mul_f32 v[108:109], v[4:5], v[108:109]                // 00000000AB64: D3B1406C 1802D904
	v_pk_mul_f32 v[204:205], v[4:5], v[204:205]                // 00000000AB6C: D3B140CC 18039904
	v_pk_mul_f32 v[110:111], v[4:5], v[110:111]                // 00000000AB74: D3B1406E 1802DD04
	v_pk_mul_f32 v[206:207], v[4:5], v[206:207]                // 00000000AB7C: D3B140CE 18039D04
	v_pk_mul_f32 v[120:121], v[4:5], v[120:121]                // 00000000AB84: D3B14078 1802F104
	v_pk_mul_f32 v[216:217], v[4:5], v[216:217]                // 00000000AB8C: D3B140D8 1803B104
	v_pk_mul_f32 v[122:123], v[4:5], v[122:123]                // 00000000AB94: D3B1407A 1802F504
	v_pk_mul_f32 v[218:219], v[4:5], v[218:219]                // 00000000AB9C: D3B140DA 1803B504
	v_pk_mul_f32 v[132:133], v[4:5], v[132:133]                // 00000000ABA4: D3B14084 18030904
	v_pk_mul_f32 v[228:229], v[4:5], v[228:229]                // 00000000ABAC: D3B140E4 1803C904
	v_pk_mul_f32 v[134:135], v[4:5], v[134:135]                // 00000000ABB4: D3B14086 18030D04
	v_pk_mul_f32 v[230:231], v[4:5], v[230:231]                // 00000000ABBC: D3B140E6 1803CD04
	v_pk_mul_f32 v[144:145], v[4:5], v[144:145]                // 00000000ABC4: D3B14090 18032104
	v_pk_mul_f32 v[240:241], v[4:5], v[240:241]                // 00000000ABCC: D3B140F0 1803E104
	v_pk_mul_f32 v[146:147], v[4:5], v[146:147]                // 00000000ABD4: D3B14092 18032504
	v_pk_mul_f32 v[242:243], v[4:5], v[242:243]                // 00000000ABDC: D3B140F2 1803E504
	v_mul_f32_e32 v34, v34, v250                               // 00000000ABE4: 0A45F522
	v_mov_b32_e32 v4, v34                                      // 00000000ABE8: 7E080322
	v_mov_b32_e32 v5, v4                                       // 00000000ABEC: 7E0A0304
	v_pk_mul_f32 v[64:65], v[4:5], v[64:65]                    // 00000000ABF0: D3B14040 18028104
	v_pk_mul_f32 v[160:161], v[4:5], v[160:161]                // 00000000ABF8: D3B140A0 18034104
	v_pk_mul_f32 v[66:67], v[4:5], v[66:67]                    // 00000000AC00: D3B14042 18028504
	v_pk_mul_f32 v[162:163], v[4:5], v[162:163]                // 00000000AC08: D3B140A2 18034504
	v_pk_mul_f32 v[76:77], v[4:5], v[76:77]                    // 00000000AC10: D3B1404C 18029904
	v_pk_mul_f32 v[172:173], v[4:5], v[172:173]                // 00000000AC18: D3B140AC 18035904
	v_pk_mul_f32 v[78:79], v[4:5], v[78:79]                    // 00000000AC20: D3B1404E 18029D04
	v_pk_mul_f32 v[174:175], v[4:5], v[174:175]                // 00000000AC28: D3B140AE 18035D04
	v_pk_mul_f32 v[88:89], v[4:5], v[88:89]                    // 00000000AC30: D3B14058 1802B104
	v_pk_mul_f32 v[184:185], v[4:5], v[184:185]                // 00000000AC38: D3B140B8 18037104
	v_pk_mul_f32 v[90:91], v[4:5], v[90:91]                    // 00000000AC40: D3B1405A 1802B504
	v_pk_mul_f32 v[186:187], v[4:5], v[186:187]                // 00000000AC48: D3B140BA 18037504
	v_pk_mul_f32 v[100:101], v[4:5], v[100:101]                // 00000000AC50: D3B14064 1802C904
	v_pk_mul_f32 v[196:197], v[4:5], v[196:197]                // 00000000AC58: D3B140C4 18038904
	v_pk_mul_f32 v[102:103], v[4:5], v[102:103]                // 00000000AC60: D3B14066 1802CD04
	v_pk_mul_f32 v[198:199], v[4:5], v[198:199]                // 00000000AC68: D3B140C6 18038D04
	v_pk_mul_f32 v[112:113], v[4:5], v[112:113]                // 00000000AC70: D3B14070 1802E104
	v_pk_mul_f32 v[208:209], v[4:5], v[208:209]                // 00000000AC78: D3B140D0 1803A104
	v_pk_mul_f32 v[114:115], v[4:5], v[114:115]                // 00000000AC80: D3B14072 1802E504
	v_pk_mul_f32 v[210:211], v[4:5], v[210:211]                // 00000000AC88: D3B140D2 1803A504
	v_pk_mul_f32 v[124:125], v[4:5], v[124:125]                // 00000000AC90: D3B1407C 1802F904
	v_pk_mul_f32 v[220:221], v[4:5], v[220:221]                // 00000000AC98: D3B140DC 1803B904
	v_pk_mul_f32 v[126:127], v[4:5], v[126:127]                // 00000000ACA0: D3B1407E 1802FD04
	v_pk_mul_f32 v[222:223], v[4:5], v[222:223]                // 00000000ACA8: D3B140DE 1803BD04
	v_pk_mul_f32 v[136:137], v[4:5], v[136:137]                // 00000000ACB0: D3B14088 18031104
	v_pk_mul_f32 v[232:233], v[4:5], v[232:233]                // 00000000ACB8: D3B140E8 1803D104
	v_pk_mul_f32 v[138:139], v[4:5], v[138:139]                // 00000000ACC0: D3B1408A 18031504
	v_pk_mul_f32 v[234:235], v[4:5], v[234:235]                // 00000000ACC8: D3B140EA 1803D504
	v_pk_mul_f32 v[148:149], v[4:5], v[148:149]                // 00000000ACD0: D3B14094 18032904
	v_pk_mul_f32 v[244:245], v[4:5], v[244:245]                // 00000000ACD8: D3B140F4 1803E904
	v_pk_mul_f32 v[150:151], v[4:5], v[150:151]                // 00000000ACE0: D3B14096 18032D04
	v_pk_mul_f32 v[246:247], v[4:5], v[246:247]                // 00000000ACE8: D3B140F6 1803ED04
	s_cmp_eq_u32 s88, 0                                        // 00000000ACF0: BF068058
	s_cbranch_scc0 label_2C16                                  // 00000000ACF4: BF840B55
	s_cmp_eq_u32 s89, 0                                        // 00000000ACF8: BF068059
	s_cbranch_scc1 label_2488                                  // 00000000ACFC: BF8503C5
	v_mov_b32_e32 v8, v1                                       // 00000000AD00: 7E100301
	v_mov_b32_e32 v9, v1                                       // 00000000AD04: 7E120301
	s_mov_b32 s60, s6                                          // 00000000AD08: BEBC0006
	s_mov_b32 s61, s6                                          // 00000000AD0C: BEBD0006
	v_pk_mul_f32 v[4:5], v[56:57], v[56:57]                    // 00000000AD10: D3B14004 18027138
	v_pk_mul_f32 v[6:7], v[58:59], v[58:59]                    // 00000000AD18: D3B14006 1802753A
	v_pk_fma_f32 v[4:5], v[4:5], s[78:79], v[8:9]              // 00000000AD20: D3B04004 1C209D04
	v_pk_fma_f32 v[6:7], v[6:7], s[78:79], v[8:9]              // 00000000AD28: D3B04006 1C209D06
	v_pk_mul_f32 v[4:5], v[4:5], v[56:57]                      // 00000000AD30: D3B14004 18027104
	v_pk_mul_f32 v[6:7], v[6:7], v[58:59]                      // 00000000AD38: D3B14006 18027506
	v_pk_mul_f32 v[4:5], v[4:5], s[60:61]                      // 00000000AD40: D3B14004 18007904
	v_pk_mul_f32 v[6:7], v[6:7], s[60:61]                      // 00000000AD48: D3B14006 18007906
	v_exp_f32_e32 v4, v4                                       // 00000000AD50: 7E084104
	v_exp_f32_e32 v5, v5                                       // 00000000AD54: 7E0A4105
	v_exp_f32_e32 v6, v6                                       // 00000000AD58: 7E0C4106
	v_exp_f32_e32 v7, v7                                       // 00000000AD5C: 7E0E4107
	v_add_f32_e64 v4, v4, 1.0                                  // 00000000AD60: D1010004 0001E504
	v_add_f32_e64 v5, v5, 1.0                                  // 00000000AD68: D1010005 0001E505
	v_add_f32_e64 v6, v6, 1.0                                  // 00000000AD70: D1010006 0001E506
	v_add_f32_e64 v7, v7, 1.0                                  // 00000000AD78: D1010007 0001E507
	v_rcp_f32_e32 v4, v4                                       // 00000000AD80: 7E084504
	v_rcp_f32_e32 v5, v5                                       // 00000000AD84: 7E0A4505
	v_rcp_f32_e32 v6, v6                                       // 00000000AD88: 7E0C4506
	v_rcp_f32_e32 v7, v7                                       // 00000000AD8C: 7E0E4507
	v_mul_f32_e32 v56, v56, v4                                 // 00000000AD90: 0A700938
	v_mul_f32_e32 v57, v57, v5                                 // 00000000AD94: 0A720B39
	v_mul_f32_e32 v58, v58, v6                                 // 00000000AD98: 0A740D3A
	v_mul_f32_e32 v59, v59, v7                                 // 00000000AD9C: 0A760F3B
	v_mul_f32_e32 v56, v56, v152                               // 00000000ADA0: 0A713138
	v_mul_f32_e32 v57, v57, v153                               // 00000000ADA4: 0A733339
	v_mul_f32_e32 v58, v58, v154                               // 00000000ADA8: 0A75353A
	v_mul_f32_e32 v59, v59, v155                               // 00000000ADAC: 0A77373B
	v_pk_mul_f32 v[4:5], v[60:61], v[60:61]                    // 00000000ADB0: D3B14004 1802793C
	v_pk_mul_f32 v[6:7], v[62:63], v[62:63]                    // 00000000ADB8: D3B14006 18027D3E
	v_pk_fma_f32 v[4:5], v[4:5], s[78:79], v[8:9]              // 00000000ADC0: D3B04004 1C209D04
	v_pk_fma_f32 v[6:7], v[6:7], s[78:79], v[8:9]              // 00000000ADC8: D3B04006 1C209D06
	v_pk_mul_f32 v[4:5], v[4:5], v[60:61]                      // 00000000ADD0: D3B14004 18027904
	v_pk_mul_f32 v[6:7], v[6:7], v[62:63]                      // 00000000ADD8: D3B14006 18027D06
	v_pk_mul_f32 v[4:5], v[4:5], s[60:61]                      // 00000000ADE0: D3B14004 18007904
	v_pk_mul_f32 v[6:7], v[6:7], s[60:61]                      // 00000000ADE8: D3B14006 18007906
	v_exp_f32_e32 v4, v4                                       // 00000000ADF0: 7E084104
	v_exp_f32_e32 v5, v5                                       // 00000000ADF4: 7E0A4105
	v_exp_f32_e32 v6, v6                                       // 00000000ADF8: 7E0C4106
	v_exp_f32_e32 v7, v7                                       // 00000000ADFC: 7E0E4107
	v_add_f32_e64 v4, v4, 1.0                                  // 00000000AE00: D1010004 0001E504
	v_add_f32_e64 v5, v5, 1.0                                  // 00000000AE08: D1010005 0001E505
	v_add_f32_e64 v6, v6, 1.0                                  // 00000000AE10: D1010006 0001E506
	v_add_f32_e64 v7, v7, 1.0                                  // 00000000AE18: D1010007 0001E507
	v_rcp_f32_e32 v4, v4                                       // 00000000AE20: 7E084504
	v_rcp_f32_e32 v5, v5                                       // 00000000AE24: 7E0A4505
	v_rcp_f32_e32 v6, v6                                       // 00000000AE28: 7E0C4506
	v_rcp_f32_e32 v7, v7                                       // 00000000AE2C: 7E0E4507
	v_mul_f32_e32 v60, v60, v4                                 // 00000000AE30: 0A78093C
	v_mul_f32_e32 v61, v61, v5                                 // 00000000AE34: 0A7A0B3D
	v_mul_f32_e32 v62, v62, v6                                 // 00000000AE38: 0A7C0D3E
	v_mul_f32_e32 v63, v63, v7                                 // 00000000AE3C: 0A7E0F3F
	v_mul_f32_e32 v60, v60, v156                               // 00000000AE40: 0A79393C
	v_mul_f32_e32 v61, v61, v157                               // 00000000AE44: 0A7B3B3D
	v_mul_f32_e32 v62, v62, v158                               // 00000000AE48: 0A7D3D3E
	v_mul_f32_e32 v63, v63, v159                               // 00000000AE4C: 0A7F3F3F
	v_pk_mul_f32 v[4:5], v[64:65], v[64:65]                    // 00000000AE50: D3B14004 18028140
	v_pk_mul_f32 v[6:7], v[66:67], v[66:67]                    // 00000000AE58: D3B14006 18028542
	v_pk_fma_f32 v[4:5], v[4:5], s[78:79], v[8:9]              // 00000000AE60: D3B04004 1C209D04
	v_pk_fma_f32 v[6:7], v[6:7], s[78:79], v[8:9]              // 00000000AE68: D3B04006 1C209D06
	v_pk_mul_f32 v[4:5], v[4:5], v[64:65]                      // 00000000AE70: D3B14004 18028104
	v_pk_mul_f32 v[6:7], v[6:7], v[66:67]                      // 00000000AE78: D3B14006 18028506
	v_pk_mul_f32 v[4:5], v[4:5], s[60:61]                      // 00000000AE80: D3B14004 18007904
	v_pk_mul_f32 v[6:7], v[6:7], s[60:61]                      // 00000000AE88: D3B14006 18007906
	v_exp_f32_e32 v4, v4                                       // 00000000AE90: 7E084104
	v_exp_f32_e32 v5, v5                                       // 00000000AE94: 7E0A4105
	v_exp_f32_e32 v6, v6                                       // 00000000AE98: 7E0C4106
	v_exp_f32_e32 v7, v7                                       // 00000000AE9C: 7E0E4107
	v_add_f32_e64 v4, v4, 1.0                                  // 00000000AEA0: D1010004 0001E504
	v_add_f32_e64 v5, v5, 1.0                                  // 00000000AEA8: D1010005 0001E505
	v_add_f32_e64 v6, v6, 1.0                                  // 00000000AEB0: D1010006 0001E506
	v_add_f32_e64 v7, v7, 1.0                                  // 00000000AEB8: D1010007 0001E507
	v_rcp_f32_e32 v4, v4                                       // 00000000AEC0: 7E084504
	v_rcp_f32_e32 v5, v5                                       // 00000000AEC4: 7E0A4505
	v_rcp_f32_e32 v6, v6                                       // 00000000AEC8: 7E0C4506
	v_rcp_f32_e32 v7, v7                                       // 00000000AECC: 7E0E4507
	v_mul_f32_e32 v64, v64, v4                                 // 00000000AED0: 0A800940
	v_mul_f32_e32 v65, v65, v5                                 // 00000000AED4: 0A820B41
	v_mul_f32_e32 v66, v66, v6                                 // 00000000AED8: 0A840D42
	v_mul_f32_e32 v67, v67, v7                                 // 00000000AEDC: 0A860F43
	v_mul_f32_e32 v64, v64, v160                               // 00000000AEE0: 0A814140
	v_mul_f32_e32 v65, v65, v161                               // 00000000AEE4: 0A834341
	v_mul_f32_e32 v66, v66, v162                               // 00000000AEE8: 0A854542
	v_mul_f32_e32 v67, v67, v163                               // 00000000AEEC: 0A874743
	v_pk_mul_f32 v[4:5], v[68:69], v[68:69]                    // 00000000AEF0: D3B14004 18028944
	v_pk_mul_f32 v[6:7], v[70:71], v[70:71]                    // 00000000AEF8: D3B14006 18028D46
	v_pk_fma_f32 v[4:5], v[4:5], s[78:79], v[8:9]              // 00000000AF00: D3B04004 1C209D04
	v_pk_fma_f32 v[6:7], v[6:7], s[78:79], v[8:9]              // 00000000AF08: D3B04006 1C209D06
	v_pk_mul_f32 v[4:5], v[4:5], v[68:69]                      // 00000000AF10: D3B14004 18028904
	v_pk_mul_f32 v[6:7], v[6:7], v[70:71]                      // 00000000AF18: D3B14006 18028D06
	v_pk_mul_f32 v[4:5], v[4:5], s[60:61]                      // 00000000AF20: D3B14004 18007904
	v_pk_mul_f32 v[6:7], v[6:7], s[60:61]                      // 00000000AF28: D3B14006 18007906
	v_exp_f32_e32 v4, v4                                       // 00000000AF30: 7E084104
	v_exp_f32_e32 v5, v5                                       // 00000000AF34: 7E0A4105
	v_exp_f32_e32 v6, v6                                       // 00000000AF38: 7E0C4106
	v_exp_f32_e32 v7, v7                                       // 00000000AF3C: 7E0E4107
	v_add_f32_e64 v4, v4, 1.0                                  // 00000000AF40: D1010004 0001E504
	v_add_f32_e64 v5, v5, 1.0                                  // 00000000AF48: D1010005 0001E505
	v_add_f32_e64 v6, v6, 1.0                                  // 00000000AF50: D1010006 0001E506
	v_add_f32_e64 v7, v7, 1.0                                  // 00000000AF58: D1010007 0001E507
	v_rcp_f32_e32 v4, v4                                       // 00000000AF60: 7E084504
	v_rcp_f32_e32 v5, v5                                       // 00000000AF64: 7E0A4505
	v_rcp_f32_e32 v6, v6                                       // 00000000AF68: 7E0C4506
	v_rcp_f32_e32 v7, v7                                       // 00000000AF6C: 7E0E4507
	v_mul_f32_e32 v68, v68, v4                                 // 00000000AF70: 0A880944
	v_mul_f32_e32 v69, v69, v5                                 // 00000000AF74: 0A8A0B45
	v_mul_f32_e32 v70, v70, v6                                 // 00000000AF78: 0A8C0D46
	v_mul_f32_e32 v71, v71, v7                                 // 00000000AF7C: 0A8E0F47
	v_mul_f32_e32 v68, v68, v164                               // 00000000AF80: 0A894944
	v_mul_f32_e32 v69, v69, v165                               // 00000000AF84: 0A8B4B45
	v_mul_f32_e32 v70, v70, v166                               // 00000000AF88: 0A8D4D46
	v_mul_f32_e32 v71, v71, v167                               // 00000000AF8C: 0A8F4F47
	v_pk_mul_f32 v[4:5], v[72:73], v[72:73]                    // 00000000AF90: D3B14004 18029148
	v_pk_mul_f32 v[6:7], v[74:75], v[74:75]                    // 00000000AF98: D3B14006 1802954A
	v_pk_fma_f32 v[4:5], v[4:5], s[78:79], v[8:9]              // 00000000AFA0: D3B04004 1C209D04
	v_pk_fma_f32 v[6:7], v[6:7], s[78:79], v[8:9]              // 00000000AFA8: D3B04006 1C209D06
	v_pk_mul_f32 v[4:5], v[4:5], v[72:73]                      // 00000000AFB0: D3B14004 18029104
	v_pk_mul_f32 v[6:7], v[6:7], v[74:75]                      // 00000000AFB8: D3B14006 18029506
	v_pk_mul_f32 v[4:5], v[4:5], s[60:61]                      // 00000000AFC0: D3B14004 18007904
	v_pk_mul_f32 v[6:7], v[6:7], s[60:61]                      // 00000000AFC8: D3B14006 18007906
	v_exp_f32_e32 v4, v4                                       // 00000000AFD0: 7E084104
	v_exp_f32_e32 v5, v5                                       // 00000000AFD4: 7E0A4105
	v_exp_f32_e32 v6, v6                                       // 00000000AFD8: 7E0C4106
	v_exp_f32_e32 v7, v7                                       // 00000000AFDC: 7E0E4107
	v_add_f32_e64 v4, v4, 1.0                                  // 00000000AFE0: D1010004 0001E504
	v_add_f32_e64 v5, v5, 1.0                                  // 00000000AFE8: D1010005 0001E505
	v_add_f32_e64 v6, v6, 1.0                                  // 00000000AFF0: D1010006 0001E506
	v_add_f32_e64 v7, v7, 1.0                                  // 00000000AFF8: D1010007 0001E507
	v_rcp_f32_e32 v4, v4                                       // 00000000B000: 7E084504
	v_rcp_f32_e32 v5, v5                                       // 00000000B004: 7E0A4505
	v_rcp_f32_e32 v6, v6                                       // 00000000B008: 7E0C4506
	v_rcp_f32_e32 v7, v7                                       // 00000000B00C: 7E0E4507
	v_mul_f32_e32 v72, v72, v4                                 // 00000000B010: 0A900948
	v_mul_f32_e32 v73, v73, v5                                 // 00000000B014: 0A920B49
	v_mul_f32_e32 v74, v74, v6                                 // 00000000B018: 0A940D4A
	v_mul_f32_e32 v75, v75, v7                                 // 00000000B01C: 0A960F4B
	v_mul_f32_e32 v72, v72, v168                               // 00000000B020: 0A915148
	v_mul_f32_e32 v73, v73, v169                               // 00000000B024: 0A935349
	v_mul_f32_e32 v74, v74, v170                               // 00000000B028: 0A95554A
	v_mul_f32_e32 v75, v75, v171                               // 00000000B02C: 0A97574B
	v_pk_mul_f32 v[4:5], v[76:77], v[76:77]                    // 00000000B030: D3B14004 1802994C
	v_pk_mul_f32 v[6:7], v[78:79], v[78:79]                    // 00000000B038: D3B14006 18029D4E
	v_pk_fma_f32 v[4:5], v[4:5], s[78:79], v[8:9]              // 00000000B040: D3B04004 1C209D04
	v_pk_fma_f32 v[6:7], v[6:7], s[78:79], v[8:9]              // 00000000B048: D3B04006 1C209D06
	v_pk_mul_f32 v[4:5], v[4:5], v[76:77]                      // 00000000B050: D3B14004 18029904
	v_pk_mul_f32 v[6:7], v[6:7], v[78:79]                      // 00000000B058: D3B14006 18029D06
	v_pk_mul_f32 v[4:5], v[4:5], s[60:61]                      // 00000000B060: D3B14004 18007904
	v_pk_mul_f32 v[6:7], v[6:7], s[60:61]                      // 00000000B068: D3B14006 18007906
	v_exp_f32_e32 v4, v4                                       // 00000000B070: 7E084104
	v_exp_f32_e32 v5, v5                                       // 00000000B074: 7E0A4105
	v_exp_f32_e32 v6, v6                                       // 00000000B078: 7E0C4106
	v_exp_f32_e32 v7, v7                                       // 00000000B07C: 7E0E4107
	v_add_f32_e64 v4, v4, 1.0                                  // 00000000B080: D1010004 0001E504
	v_add_f32_e64 v5, v5, 1.0                                  // 00000000B088: D1010005 0001E505
	v_add_f32_e64 v6, v6, 1.0                                  // 00000000B090: D1010006 0001E506
	v_add_f32_e64 v7, v7, 1.0                                  // 00000000B098: D1010007 0001E507
	v_rcp_f32_e32 v4, v4                                       // 00000000B0A0: 7E084504
	v_rcp_f32_e32 v5, v5                                       // 00000000B0A4: 7E0A4505
	v_rcp_f32_e32 v6, v6                                       // 00000000B0A8: 7E0C4506
	v_rcp_f32_e32 v7, v7                                       // 00000000B0AC: 7E0E4507
	v_mul_f32_e32 v76, v76, v4                                 // 00000000B0B0: 0A98094C
	v_mul_f32_e32 v77, v77, v5                                 // 00000000B0B4: 0A9A0B4D
	v_mul_f32_e32 v78, v78, v6                                 // 00000000B0B8: 0A9C0D4E
	v_mul_f32_e32 v79, v79, v7                                 // 00000000B0BC: 0A9E0F4F
	v_mul_f32_e32 v76, v76, v172                               // 00000000B0C0: 0A99594C
	v_mul_f32_e32 v77, v77, v173                               // 00000000B0C4: 0A9B5B4D
	v_mul_f32_e32 v78, v78, v174                               // 00000000B0C8: 0A9D5D4E
	v_mul_f32_e32 v79, v79, v175                               // 00000000B0CC: 0A9F5F4F
	v_pk_mul_f32 v[4:5], v[80:81], v[80:81]                    // 00000000B0D0: D3B14004 1802A150
	v_pk_mul_f32 v[6:7], v[82:83], v[82:83]                    // 00000000B0D8: D3B14006 1802A552
	v_pk_fma_f32 v[4:5], v[4:5], s[78:79], v[8:9]              // 00000000B0E0: D3B04004 1C209D04
	v_pk_fma_f32 v[6:7], v[6:7], s[78:79], v[8:9]              // 00000000B0E8: D3B04006 1C209D06
	v_pk_mul_f32 v[4:5], v[4:5], v[80:81]                      // 00000000B0F0: D3B14004 1802A104
	v_pk_mul_f32 v[6:7], v[6:7], v[82:83]                      // 00000000B0F8: D3B14006 1802A506
	v_pk_mul_f32 v[4:5], v[4:5], s[60:61]                      // 00000000B100: D3B14004 18007904
	v_pk_mul_f32 v[6:7], v[6:7], s[60:61]                      // 00000000B108: D3B14006 18007906
	v_exp_f32_e32 v4, v4                                       // 00000000B110: 7E084104
	v_exp_f32_e32 v5, v5                                       // 00000000B114: 7E0A4105
	v_exp_f32_e32 v6, v6                                       // 00000000B118: 7E0C4106
	v_exp_f32_e32 v7, v7                                       // 00000000B11C: 7E0E4107
	v_add_f32_e64 v4, v4, 1.0                                  // 00000000B120: D1010004 0001E504
	v_add_f32_e64 v5, v5, 1.0                                  // 00000000B128: D1010005 0001E505
	v_add_f32_e64 v6, v6, 1.0                                  // 00000000B130: D1010006 0001E506
	v_add_f32_e64 v7, v7, 1.0                                  // 00000000B138: D1010007 0001E507
	v_rcp_f32_e32 v4, v4                                       // 00000000B140: 7E084504
	v_rcp_f32_e32 v5, v5                                       // 00000000B144: 7E0A4505
	v_rcp_f32_e32 v6, v6                                       // 00000000B148: 7E0C4506
	v_rcp_f32_e32 v7, v7                                       // 00000000B14C: 7E0E4507
	v_mul_f32_e32 v80, v80, v4                                 // 00000000B150: 0AA00950
	v_mul_f32_e32 v81, v81, v5                                 // 00000000B154: 0AA20B51
	v_mul_f32_e32 v82, v82, v6                                 // 00000000B158: 0AA40D52
	v_mul_f32_e32 v83, v83, v7                                 // 00000000B15C: 0AA60F53
	v_mul_f32_e32 v80, v80, v176                               // 00000000B160: 0AA16150
	v_mul_f32_e32 v81, v81, v177                               // 00000000B164: 0AA36351
	v_mul_f32_e32 v82, v82, v178                               // 00000000B168: 0AA56552
	v_mul_f32_e32 v83, v83, v179                               // 00000000B16C: 0AA76753
	v_pk_mul_f32 v[4:5], v[84:85], v[84:85]                    // 00000000B170: D3B14004 1802A954
	v_pk_mul_f32 v[6:7], v[86:87], v[86:87]                    // 00000000B178: D3B14006 1802AD56
	v_pk_fma_f32 v[4:5], v[4:5], s[78:79], v[8:9]              // 00000000B180: D3B04004 1C209D04
	v_pk_fma_f32 v[6:7], v[6:7], s[78:79], v[8:9]              // 00000000B188: D3B04006 1C209D06
	v_pk_mul_f32 v[4:5], v[4:5], v[84:85]                      // 00000000B190: D3B14004 1802A904
	v_pk_mul_f32 v[6:7], v[6:7], v[86:87]                      // 00000000B198: D3B14006 1802AD06
	v_pk_mul_f32 v[4:5], v[4:5], s[60:61]                      // 00000000B1A0: D3B14004 18007904
	v_pk_mul_f32 v[6:7], v[6:7], s[60:61]                      // 00000000B1A8: D3B14006 18007906
	v_exp_f32_e32 v4, v4                                       // 00000000B1B0: 7E084104
	v_exp_f32_e32 v5, v5                                       // 00000000B1B4: 7E0A4105
	v_exp_f32_e32 v6, v6                                       // 00000000B1B8: 7E0C4106
	v_exp_f32_e32 v7, v7                                       // 00000000B1BC: 7E0E4107
	v_add_f32_e64 v4, v4, 1.0                                  // 00000000B1C0: D1010004 0001E504
	v_add_f32_e64 v5, v5, 1.0                                  // 00000000B1C8: D1010005 0001E505
	v_add_f32_e64 v6, v6, 1.0                                  // 00000000B1D0: D1010006 0001E506
	v_add_f32_e64 v7, v7, 1.0                                  // 00000000B1D8: D1010007 0001E507
	v_rcp_f32_e32 v4, v4                                       // 00000000B1E0: 7E084504
	v_rcp_f32_e32 v5, v5                                       // 00000000B1E4: 7E0A4505
	v_rcp_f32_e32 v6, v6                                       // 00000000B1E8: 7E0C4506
	v_rcp_f32_e32 v7, v7                                       // 00000000B1EC: 7E0E4507
	v_mul_f32_e32 v84, v84, v4                                 // 00000000B1F0: 0AA80954
	v_mul_f32_e32 v85, v85, v5                                 // 00000000B1F4: 0AAA0B55
	v_mul_f32_e32 v86, v86, v6                                 // 00000000B1F8: 0AAC0D56
	v_mul_f32_e32 v87, v87, v7                                 // 00000000B1FC: 0AAE0F57
	v_mul_f32_e32 v84, v84, v180                               // 00000000B200: 0AA96954
	v_mul_f32_e32 v85, v85, v181                               // 00000000B204: 0AAB6B55
	v_mul_f32_e32 v86, v86, v182                               // 00000000B208: 0AAD6D56
	v_mul_f32_e32 v87, v87, v183                               // 00000000B20C: 0AAF6F57
	v_pk_mul_f32 v[4:5], v[88:89], v[88:89]                    // 00000000B210: D3B14004 1802B158
	v_pk_mul_f32 v[6:7], v[90:91], v[90:91]                    // 00000000B218: D3B14006 1802B55A
	v_pk_fma_f32 v[4:5], v[4:5], s[78:79], v[8:9]              // 00000000B220: D3B04004 1C209D04
	v_pk_fma_f32 v[6:7], v[6:7], s[78:79], v[8:9]              // 00000000B228: D3B04006 1C209D06
	v_pk_mul_f32 v[4:5], v[4:5], v[88:89]                      // 00000000B230: D3B14004 1802B104
	v_pk_mul_f32 v[6:7], v[6:7], v[90:91]                      // 00000000B238: D3B14006 1802B506
	v_pk_mul_f32 v[4:5], v[4:5], s[60:61]                      // 00000000B240: D3B14004 18007904
	v_pk_mul_f32 v[6:7], v[6:7], s[60:61]                      // 00000000B248: D3B14006 18007906
	v_exp_f32_e32 v4, v4                                       // 00000000B250: 7E084104
	v_exp_f32_e32 v5, v5                                       // 00000000B254: 7E0A4105
	v_exp_f32_e32 v6, v6                                       // 00000000B258: 7E0C4106
	v_exp_f32_e32 v7, v7                                       // 00000000B25C: 7E0E4107
	v_add_f32_e64 v4, v4, 1.0                                  // 00000000B260: D1010004 0001E504
	v_add_f32_e64 v5, v5, 1.0                                  // 00000000B268: D1010005 0001E505
	v_add_f32_e64 v6, v6, 1.0                                  // 00000000B270: D1010006 0001E506
	v_add_f32_e64 v7, v7, 1.0                                  // 00000000B278: D1010007 0001E507
	v_rcp_f32_e32 v4, v4                                       // 00000000B280: 7E084504
	v_rcp_f32_e32 v5, v5                                       // 00000000B284: 7E0A4505
	v_rcp_f32_e32 v6, v6                                       // 00000000B288: 7E0C4506
	v_rcp_f32_e32 v7, v7                                       // 00000000B28C: 7E0E4507
	v_mul_f32_e32 v88, v88, v4                                 // 00000000B290: 0AB00958
	v_mul_f32_e32 v89, v89, v5                                 // 00000000B294: 0AB20B59
	v_mul_f32_e32 v90, v90, v6                                 // 00000000B298: 0AB40D5A
	v_mul_f32_e32 v91, v91, v7                                 // 00000000B29C: 0AB60F5B
	v_mul_f32_e32 v88, v88, v184                               // 00000000B2A0: 0AB17158
	v_mul_f32_e32 v89, v89, v185                               // 00000000B2A4: 0AB37359
	v_mul_f32_e32 v90, v90, v186                               // 00000000B2A8: 0AB5755A
	v_mul_f32_e32 v91, v91, v187                               // 00000000B2AC: 0AB7775B
	v_pk_mul_f32 v[4:5], v[92:93], v[92:93]                    // 00000000B2B0: D3B14004 1802B95C
	v_pk_mul_f32 v[6:7], v[94:95], v[94:95]                    // 00000000B2B8: D3B14006 1802BD5E
	v_pk_fma_f32 v[4:5], v[4:5], s[78:79], v[8:9]              // 00000000B2C0: D3B04004 1C209D04
	v_pk_fma_f32 v[6:7], v[6:7], s[78:79], v[8:9]              // 00000000B2C8: D3B04006 1C209D06
	v_pk_mul_f32 v[4:5], v[4:5], v[92:93]                      // 00000000B2D0: D3B14004 1802B904
	v_pk_mul_f32 v[6:7], v[6:7], v[94:95]                      // 00000000B2D8: D3B14006 1802BD06
	v_pk_mul_f32 v[4:5], v[4:5], s[60:61]                      // 00000000B2E0: D3B14004 18007904
	v_pk_mul_f32 v[6:7], v[6:7], s[60:61]                      // 00000000B2E8: D3B14006 18007906
	v_exp_f32_e32 v4, v4                                       // 00000000B2F0: 7E084104
	v_exp_f32_e32 v5, v5                                       // 00000000B2F4: 7E0A4105
	v_exp_f32_e32 v6, v6                                       // 00000000B2F8: 7E0C4106
	v_exp_f32_e32 v7, v7                                       // 00000000B2FC: 7E0E4107
	v_add_f32_e64 v4, v4, 1.0                                  // 00000000B300: D1010004 0001E504
	v_add_f32_e64 v5, v5, 1.0                                  // 00000000B308: D1010005 0001E505
	v_add_f32_e64 v6, v6, 1.0                                  // 00000000B310: D1010006 0001E506
	v_add_f32_e64 v7, v7, 1.0                                  // 00000000B318: D1010007 0001E507
	v_rcp_f32_e32 v4, v4                                       // 00000000B320: 7E084504
	v_rcp_f32_e32 v5, v5                                       // 00000000B324: 7E0A4505
	v_rcp_f32_e32 v6, v6                                       // 00000000B328: 7E0C4506
	v_rcp_f32_e32 v7, v7                                       // 00000000B32C: 7E0E4507
	v_mul_f32_e32 v92, v92, v4                                 // 00000000B330: 0AB8095C
	v_mul_f32_e32 v93, v93, v5                                 // 00000000B334: 0ABA0B5D
	v_mul_f32_e32 v94, v94, v6                                 // 00000000B338: 0ABC0D5E
	v_mul_f32_e32 v95, v95, v7                                 // 00000000B33C: 0ABE0F5F
	v_mul_f32_e32 v92, v92, v188                               // 00000000B340: 0AB9795C
	v_mul_f32_e32 v93, v93, v189                               // 00000000B344: 0ABB7B5D
	v_mul_f32_e32 v94, v94, v190                               // 00000000B348: 0ABD7D5E
	v_mul_f32_e32 v95, v95, v191                               // 00000000B34C: 0ABF7F5F
	v_pk_mul_f32 v[4:5], v[96:97], v[96:97]                    // 00000000B350: D3B14004 1802C160
	v_pk_mul_f32 v[6:7], v[98:99], v[98:99]                    // 00000000B358: D3B14006 1802C562
	v_pk_fma_f32 v[4:5], v[4:5], s[78:79], v[8:9]              // 00000000B360: D3B04004 1C209D04
	v_pk_fma_f32 v[6:7], v[6:7], s[78:79], v[8:9]              // 00000000B368: D3B04006 1C209D06
	v_pk_mul_f32 v[4:5], v[4:5], v[96:97]                      // 00000000B370: D3B14004 1802C104
	v_pk_mul_f32 v[6:7], v[6:7], v[98:99]                      // 00000000B378: D3B14006 1802C506
	v_pk_mul_f32 v[4:5], v[4:5], s[60:61]                      // 00000000B380: D3B14004 18007904
	v_pk_mul_f32 v[6:7], v[6:7], s[60:61]                      // 00000000B388: D3B14006 18007906
	v_exp_f32_e32 v4, v4                                       // 00000000B390: 7E084104
	v_exp_f32_e32 v5, v5                                       // 00000000B394: 7E0A4105
	v_exp_f32_e32 v6, v6                                       // 00000000B398: 7E0C4106
	v_exp_f32_e32 v7, v7                                       // 00000000B39C: 7E0E4107
	v_add_f32_e64 v4, v4, 1.0                                  // 00000000B3A0: D1010004 0001E504
	v_add_f32_e64 v5, v5, 1.0                                  // 00000000B3A8: D1010005 0001E505
	v_add_f32_e64 v6, v6, 1.0                                  // 00000000B3B0: D1010006 0001E506
	v_add_f32_e64 v7, v7, 1.0                                  // 00000000B3B8: D1010007 0001E507
	v_rcp_f32_e32 v4, v4                                       // 00000000B3C0: 7E084504
	v_rcp_f32_e32 v5, v5                                       // 00000000B3C4: 7E0A4505
	v_rcp_f32_e32 v6, v6                                       // 00000000B3C8: 7E0C4506
	v_rcp_f32_e32 v7, v7                                       // 00000000B3CC: 7E0E4507
	v_mul_f32_e32 v96, v96, v4                                 // 00000000B3D0: 0AC00960
	v_mul_f32_e32 v97, v97, v5                                 // 00000000B3D4: 0AC20B61
	v_mul_f32_e32 v98, v98, v6                                 // 00000000B3D8: 0AC40D62
	v_mul_f32_e32 v99, v99, v7                                 // 00000000B3DC: 0AC60F63
	v_mul_f32_e32 v96, v96, v192                               // 00000000B3E0: 0AC18160
	v_mul_f32_e32 v97, v97, v193                               // 00000000B3E4: 0AC38361
	v_mul_f32_e32 v98, v98, v194                               // 00000000B3E8: 0AC58562
	v_mul_f32_e32 v99, v99, v195                               // 00000000B3EC: 0AC78763
	v_pk_mul_f32 v[4:5], v[100:101], v[100:101]                // 00000000B3F0: D3B14004 1802C964
	v_pk_mul_f32 v[6:7], v[102:103], v[102:103]                // 00000000B3F8: D3B14006 1802CD66
	v_pk_fma_f32 v[4:5], v[4:5], s[78:79], v[8:9]              // 00000000B400: D3B04004 1C209D04
	v_pk_fma_f32 v[6:7], v[6:7], s[78:79], v[8:9]              // 00000000B408: D3B04006 1C209D06
	v_pk_mul_f32 v[4:5], v[4:5], v[100:101]                    // 00000000B410: D3B14004 1802C904
	v_pk_mul_f32 v[6:7], v[6:7], v[102:103]                    // 00000000B418: D3B14006 1802CD06
	v_pk_mul_f32 v[4:5], v[4:5], s[60:61]                      // 00000000B420: D3B14004 18007904
	v_pk_mul_f32 v[6:7], v[6:7], s[60:61]                      // 00000000B428: D3B14006 18007906
	v_exp_f32_e32 v4, v4                                       // 00000000B430: 7E084104
	v_exp_f32_e32 v5, v5                                       // 00000000B434: 7E0A4105
	v_exp_f32_e32 v6, v6                                       // 00000000B438: 7E0C4106
	v_exp_f32_e32 v7, v7                                       // 00000000B43C: 7E0E4107
	v_add_f32_e64 v4, v4, 1.0                                  // 00000000B440: D1010004 0001E504
	v_add_f32_e64 v5, v5, 1.0                                  // 00000000B448: D1010005 0001E505
	v_add_f32_e64 v6, v6, 1.0                                  // 00000000B450: D1010006 0001E506
	v_add_f32_e64 v7, v7, 1.0                                  // 00000000B458: D1010007 0001E507
	v_rcp_f32_e32 v4, v4                                       // 00000000B460: 7E084504
	v_rcp_f32_e32 v5, v5                                       // 00000000B464: 7E0A4505
	v_rcp_f32_e32 v6, v6                                       // 00000000B468: 7E0C4506
	v_rcp_f32_e32 v7, v7                                       // 00000000B46C: 7E0E4507
	v_mul_f32_e32 v100, v100, v4                               // 00000000B470: 0AC80964
	v_mul_f32_e32 v101, v101, v5                               // 00000000B474: 0ACA0B65
	v_mul_f32_e32 v102, v102, v6                               // 00000000B478: 0ACC0D66
	v_mul_f32_e32 v103, v103, v7                               // 00000000B47C: 0ACE0F67
	v_mul_f32_e32 v100, v100, v196                             // 00000000B480: 0AC98964
	v_mul_f32_e32 v101, v101, v197                             // 00000000B484: 0ACB8B65
	v_mul_f32_e32 v102, v102, v198                             // 00000000B488: 0ACD8D66
	v_mul_f32_e32 v103, v103, v199                             // 00000000B48C: 0ACF8F67
	v_pk_mul_f32 v[4:5], v[104:105], v[104:105]                // 00000000B490: D3B14004 1802D168
	v_pk_mul_f32 v[6:7], v[106:107], v[106:107]                // 00000000B498: D3B14006 1802D56A
	v_pk_fma_f32 v[4:5], v[4:5], s[78:79], v[8:9]              // 00000000B4A0: D3B04004 1C209D04
	v_pk_fma_f32 v[6:7], v[6:7], s[78:79], v[8:9]              // 00000000B4A8: D3B04006 1C209D06
	v_pk_mul_f32 v[4:5], v[4:5], v[104:105]                    // 00000000B4B0: D3B14004 1802D104
	v_pk_mul_f32 v[6:7], v[6:7], v[106:107]                    // 00000000B4B8: D3B14006 1802D506
	v_pk_mul_f32 v[4:5], v[4:5], s[60:61]                      // 00000000B4C0: D3B14004 18007904
	v_pk_mul_f32 v[6:7], v[6:7], s[60:61]                      // 00000000B4C8: D3B14006 18007906
	v_exp_f32_e32 v4, v4                                       // 00000000B4D0: 7E084104
	v_exp_f32_e32 v5, v5                                       // 00000000B4D4: 7E0A4105
	v_exp_f32_e32 v6, v6                                       // 00000000B4D8: 7E0C4106
	v_exp_f32_e32 v7, v7                                       // 00000000B4DC: 7E0E4107
	v_add_f32_e64 v4, v4, 1.0                                  // 00000000B4E0: D1010004 0001E504
	v_add_f32_e64 v5, v5, 1.0                                  // 00000000B4E8: D1010005 0001E505
	v_add_f32_e64 v6, v6, 1.0                                  // 00000000B4F0: D1010006 0001E506
	v_add_f32_e64 v7, v7, 1.0                                  // 00000000B4F8: D1010007 0001E507
	v_rcp_f32_e32 v4, v4                                       // 00000000B500: 7E084504
	v_rcp_f32_e32 v5, v5                                       // 00000000B504: 7E0A4505
	v_rcp_f32_e32 v6, v6                                       // 00000000B508: 7E0C4506
	v_rcp_f32_e32 v7, v7                                       // 00000000B50C: 7E0E4507
	v_mul_f32_e32 v104, v104, v4                               // 00000000B510: 0AD00968
	v_mul_f32_e32 v105, v105, v5                               // 00000000B514: 0AD20B69
	v_mul_f32_e32 v106, v106, v6                               // 00000000B518: 0AD40D6A
	v_mul_f32_e32 v107, v107, v7                               // 00000000B51C: 0AD60F6B
	v_mul_f32_e32 v104, v104, v200                             // 00000000B520: 0AD19168
	v_mul_f32_e32 v105, v105, v201                             // 00000000B524: 0AD39369
	v_mul_f32_e32 v106, v106, v202                             // 00000000B528: 0AD5956A
	v_mul_f32_e32 v107, v107, v203                             // 00000000B52C: 0AD7976B
	v_pk_mul_f32 v[4:5], v[108:109], v[108:109]                // 00000000B530: D3B14004 1802D96C
	v_pk_mul_f32 v[6:7], v[110:111], v[110:111]                // 00000000B538: D3B14006 1802DD6E
	v_pk_fma_f32 v[4:5], v[4:5], s[78:79], v[8:9]              // 00000000B540: D3B04004 1C209D04
	v_pk_fma_f32 v[6:7], v[6:7], s[78:79], v[8:9]              // 00000000B548: D3B04006 1C209D06
	v_pk_mul_f32 v[4:5], v[4:5], v[108:109]                    // 00000000B550: D3B14004 1802D904
	v_pk_mul_f32 v[6:7], v[6:7], v[110:111]                    // 00000000B558: D3B14006 1802DD06
	v_pk_mul_f32 v[4:5], v[4:5], s[60:61]                      // 00000000B560: D3B14004 18007904
	v_pk_mul_f32 v[6:7], v[6:7], s[60:61]                      // 00000000B568: D3B14006 18007906
	v_exp_f32_e32 v4, v4                                       // 00000000B570: 7E084104
	v_exp_f32_e32 v5, v5                                       // 00000000B574: 7E0A4105
	v_exp_f32_e32 v6, v6                                       // 00000000B578: 7E0C4106
	v_exp_f32_e32 v7, v7                                       // 00000000B57C: 7E0E4107
	v_add_f32_e64 v4, v4, 1.0                                  // 00000000B580: D1010004 0001E504
	v_add_f32_e64 v5, v5, 1.0                                  // 00000000B588: D1010005 0001E505
	v_add_f32_e64 v6, v6, 1.0                                  // 00000000B590: D1010006 0001E506
	v_add_f32_e64 v7, v7, 1.0                                  // 00000000B598: D1010007 0001E507
	v_rcp_f32_e32 v4, v4                                       // 00000000B5A0: 7E084504
	v_rcp_f32_e32 v5, v5                                       // 00000000B5A4: 7E0A4505
	v_rcp_f32_e32 v6, v6                                       // 00000000B5A8: 7E0C4506
	v_rcp_f32_e32 v7, v7                                       // 00000000B5AC: 7E0E4507
	v_mul_f32_e32 v108, v108, v4                               // 00000000B5B0: 0AD8096C
	v_mul_f32_e32 v109, v109, v5                               // 00000000B5B4: 0ADA0B6D
	v_mul_f32_e32 v110, v110, v6                               // 00000000B5B8: 0ADC0D6E
	v_mul_f32_e32 v111, v111, v7                               // 00000000B5BC: 0ADE0F6F
	v_mul_f32_e32 v108, v108, v204                             // 00000000B5C0: 0AD9996C
	v_mul_f32_e32 v109, v109, v205                             // 00000000B5C4: 0ADB9B6D
	v_mul_f32_e32 v110, v110, v206                             // 00000000B5C8: 0ADD9D6E
	v_mul_f32_e32 v111, v111, v207                             // 00000000B5CC: 0ADF9F6F
	v_pk_mul_f32 v[4:5], v[112:113], v[112:113]                // 00000000B5D0: D3B14004 1802E170
	v_pk_mul_f32 v[6:7], v[114:115], v[114:115]                // 00000000B5D8: D3B14006 1802E572
	v_pk_fma_f32 v[4:5], v[4:5], s[78:79], v[8:9]              // 00000000B5E0: D3B04004 1C209D04
	v_pk_fma_f32 v[6:7], v[6:7], s[78:79], v[8:9]              // 00000000B5E8: D3B04006 1C209D06
	v_pk_mul_f32 v[4:5], v[4:5], v[112:113]                    // 00000000B5F0: D3B14004 1802E104
	v_pk_mul_f32 v[6:7], v[6:7], v[114:115]                    // 00000000B5F8: D3B14006 1802E506
	v_pk_mul_f32 v[4:5], v[4:5], s[60:61]                      // 00000000B600: D3B14004 18007904
	v_pk_mul_f32 v[6:7], v[6:7], s[60:61]                      // 00000000B608: D3B14006 18007906
	v_exp_f32_e32 v4, v4                                       // 00000000B610: 7E084104
	v_exp_f32_e32 v5, v5                                       // 00000000B614: 7E0A4105
	v_exp_f32_e32 v6, v6                                       // 00000000B618: 7E0C4106
	v_exp_f32_e32 v7, v7                                       // 00000000B61C: 7E0E4107
	v_add_f32_e64 v4, v4, 1.0                                  // 00000000B620: D1010004 0001E504
	v_add_f32_e64 v5, v5, 1.0                                  // 00000000B628: D1010005 0001E505
	v_add_f32_e64 v6, v6, 1.0                                  // 00000000B630: D1010006 0001E506
	v_add_f32_e64 v7, v7, 1.0                                  // 00000000B638: D1010007 0001E507
	v_rcp_f32_e32 v4, v4                                       // 00000000B640: 7E084504
	v_rcp_f32_e32 v5, v5                                       // 00000000B644: 7E0A4505
	v_rcp_f32_e32 v6, v6                                       // 00000000B648: 7E0C4506
	v_rcp_f32_e32 v7, v7                                       // 00000000B64C: 7E0E4507
	v_mul_f32_e32 v112, v112, v4                               // 00000000B650: 0AE00970
	v_mul_f32_e32 v113, v113, v5                               // 00000000B654: 0AE20B71
	v_mul_f32_e32 v114, v114, v6                               // 00000000B658: 0AE40D72
	v_mul_f32_e32 v115, v115, v7                               // 00000000B65C: 0AE60F73
	v_mul_f32_e32 v112, v112, v208                             // 00000000B660: 0AE1A170
	v_mul_f32_e32 v113, v113, v209                             // 00000000B664: 0AE3A371
	v_mul_f32_e32 v114, v114, v210                             // 00000000B668: 0AE5A572
	v_mul_f32_e32 v115, v115, v211                             // 00000000B66C: 0AE7A773
	v_pk_mul_f32 v[4:5], v[116:117], v[116:117]                // 00000000B670: D3B14004 1802E974
	v_pk_mul_f32 v[6:7], v[118:119], v[118:119]                // 00000000B678: D3B14006 1802ED76
	v_pk_fma_f32 v[4:5], v[4:5], s[78:79], v[8:9]              // 00000000B680: D3B04004 1C209D04
	v_pk_fma_f32 v[6:7], v[6:7], s[78:79], v[8:9]              // 00000000B688: D3B04006 1C209D06
	v_pk_mul_f32 v[4:5], v[4:5], v[116:117]                    // 00000000B690: D3B14004 1802E904
	v_pk_mul_f32 v[6:7], v[6:7], v[118:119]                    // 00000000B698: D3B14006 1802ED06
	v_pk_mul_f32 v[4:5], v[4:5], s[60:61]                      // 00000000B6A0: D3B14004 18007904
	v_pk_mul_f32 v[6:7], v[6:7], s[60:61]                      // 00000000B6A8: D3B14006 18007906
	v_exp_f32_e32 v4, v4                                       // 00000000B6B0: 7E084104
	v_exp_f32_e32 v5, v5                                       // 00000000B6B4: 7E0A4105
	v_exp_f32_e32 v6, v6                                       // 00000000B6B8: 7E0C4106
	v_exp_f32_e32 v7, v7                                       // 00000000B6BC: 7E0E4107
	v_add_f32_e64 v4, v4, 1.0                                  // 00000000B6C0: D1010004 0001E504
	v_add_f32_e64 v5, v5, 1.0                                  // 00000000B6C8: D1010005 0001E505
	v_add_f32_e64 v6, v6, 1.0                                  // 00000000B6D0: D1010006 0001E506
	v_add_f32_e64 v7, v7, 1.0                                  // 00000000B6D8: D1010007 0001E507
	v_rcp_f32_e32 v4, v4                                       // 00000000B6E0: 7E084504
	v_rcp_f32_e32 v5, v5                                       // 00000000B6E4: 7E0A4505
	v_rcp_f32_e32 v6, v6                                       // 00000000B6E8: 7E0C4506
	v_rcp_f32_e32 v7, v7                                       // 00000000B6EC: 7E0E4507
	v_mul_f32_e32 v116, v116, v4                               // 00000000B6F0: 0AE80974
	v_mul_f32_e32 v117, v117, v5                               // 00000000B6F4: 0AEA0B75
	v_mul_f32_e32 v118, v118, v6                               // 00000000B6F8: 0AEC0D76
	v_mul_f32_e32 v119, v119, v7                               // 00000000B6FC: 0AEE0F77
	v_mul_f32_e32 v116, v116, v212                             // 00000000B700: 0AE9A974
	v_mul_f32_e32 v117, v117, v213                             // 00000000B704: 0AEBAB75
	v_mul_f32_e32 v118, v118, v214                             // 00000000B708: 0AEDAD76
	v_mul_f32_e32 v119, v119, v215                             // 00000000B70C: 0AEFAF77
	v_pk_mul_f32 v[4:5], v[120:121], v[120:121]                // 00000000B710: D3B14004 1802F178
	v_pk_mul_f32 v[6:7], v[122:123], v[122:123]                // 00000000B718: D3B14006 1802F57A
	v_pk_fma_f32 v[4:5], v[4:5], s[78:79], v[8:9]              // 00000000B720: D3B04004 1C209D04
	v_pk_fma_f32 v[6:7], v[6:7], s[78:79], v[8:9]              // 00000000B728: D3B04006 1C209D06
	v_pk_mul_f32 v[4:5], v[4:5], v[120:121]                    // 00000000B730: D3B14004 1802F104
	v_pk_mul_f32 v[6:7], v[6:7], v[122:123]                    // 00000000B738: D3B14006 1802F506
	v_pk_mul_f32 v[4:5], v[4:5], s[60:61]                      // 00000000B740: D3B14004 18007904
	v_pk_mul_f32 v[6:7], v[6:7], s[60:61]                      // 00000000B748: D3B14006 18007906
	v_exp_f32_e32 v4, v4                                       // 00000000B750: 7E084104
	v_exp_f32_e32 v5, v5                                       // 00000000B754: 7E0A4105
	v_exp_f32_e32 v6, v6                                       // 00000000B758: 7E0C4106
	v_exp_f32_e32 v7, v7                                       // 00000000B75C: 7E0E4107
	v_add_f32_e64 v4, v4, 1.0                                  // 00000000B760: D1010004 0001E504
	v_add_f32_e64 v5, v5, 1.0                                  // 00000000B768: D1010005 0001E505
	v_add_f32_e64 v6, v6, 1.0                                  // 00000000B770: D1010006 0001E506
	v_add_f32_e64 v7, v7, 1.0                                  // 00000000B778: D1010007 0001E507
	v_rcp_f32_e32 v4, v4                                       // 00000000B780: 7E084504
	v_rcp_f32_e32 v5, v5                                       // 00000000B784: 7E0A4505
	v_rcp_f32_e32 v6, v6                                       // 00000000B788: 7E0C4506
	v_rcp_f32_e32 v7, v7                                       // 00000000B78C: 7E0E4507
	v_mul_f32_e32 v120, v120, v4                               // 00000000B790: 0AF00978
	v_mul_f32_e32 v121, v121, v5                               // 00000000B794: 0AF20B79
	v_mul_f32_e32 v122, v122, v6                               // 00000000B798: 0AF40D7A
	v_mul_f32_e32 v123, v123, v7                               // 00000000B79C: 0AF60F7B
	v_mul_f32_e32 v120, v120, v216                             // 00000000B7A0: 0AF1B178
	v_mul_f32_e32 v121, v121, v217                             // 00000000B7A4: 0AF3B379
	v_mul_f32_e32 v122, v122, v218                             // 00000000B7A8: 0AF5B57A
	v_mul_f32_e32 v123, v123, v219                             // 00000000B7AC: 0AF7B77B
	v_pk_mul_f32 v[4:5], v[124:125], v[124:125]                // 00000000B7B0: D3B14004 1802F97C
	v_pk_mul_f32 v[6:7], v[126:127], v[126:127]                // 00000000B7B8: D3B14006 1802FD7E
	v_pk_fma_f32 v[4:5], v[4:5], s[78:79], v[8:9]              // 00000000B7C0: D3B04004 1C209D04
	v_pk_fma_f32 v[6:7], v[6:7], s[78:79], v[8:9]              // 00000000B7C8: D3B04006 1C209D06
	v_pk_mul_f32 v[4:5], v[4:5], v[124:125]                    // 00000000B7D0: D3B14004 1802F904
	v_pk_mul_f32 v[6:7], v[6:7], v[126:127]                    // 00000000B7D8: D3B14006 1802FD06
	v_pk_mul_f32 v[4:5], v[4:5], s[60:61]                      // 00000000B7E0: D3B14004 18007904
	v_pk_mul_f32 v[6:7], v[6:7], s[60:61]                      // 00000000B7E8: D3B14006 18007906
	v_exp_f32_e32 v4, v4                                       // 00000000B7F0: 7E084104
	v_exp_f32_e32 v5, v5                                       // 00000000B7F4: 7E0A4105
	v_exp_f32_e32 v6, v6                                       // 00000000B7F8: 7E0C4106
	v_exp_f32_e32 v7, v7                                       // 00000000B7FC: 7E0E4107
	v_add_f32_e64 v4, v4, 1.0                                  // 00000000B800: D1010004 0001E504
	v_add_f32_e64 v5, v5, 1.0                                  // 00000000B808: D1010005 0001E505
	v_add_f32_e64 v6, v6, 1.0                                  // 00000000B810: D1010006 0001E506
	v_add_f32_e64 v7, v7, 1.0                                  // 00000000B818: D1010007 0001E507
	v_rcp_f32_e32 v4, v4                                       // 00000000B820: 7E084504
	v_rcp_f32_e32 v5, v5                                       // 00000000B824: 7E0A4505
	v_rcp_f32_e32 v6, v6                                       // 00000000B828: 7E0C4506
	v_rcp_f32_e32 v7, v7                                       // 00000000B82C: 7E0E4507
	v_mul_f32_e32 v124, v124, v4                               // 00000000B830: 0AF8097C
	v_mul_f32_e32 v125, v125, v5                               // 00000000B834: 0AFA0B7D
	v_mul_f32_e32 v126, v126, v6                               // 00000000B838: 0AFC0D7E
	v_mul_f32_e32 v127, v127, v7                               // 00000000B83C: 0AFE0F7F
	v_mul_f32_e32 v124, v124, v220                             // 00000000B840: 0AF9B97C
	v_mul_f32_e32 v125, v125, v221                             // 00000000B844: 0AFBBB7D
	v_mul_f32_e32 v126, v126, v222                             // 00000000B848: 0AFDBD7E
	v_mul_f32_e32 v127, v127, v223                             // 00000000B84C: 0AFFBF7F
	v_pk_mul_f32 v[4:5], v[128:129], v[128:129]                // 00000000B850: D3B14004 18030180
	v_pk_mul_f32 v[6:7], v[130:131], v[130:131]                // 00000000B858: D3B14006 18030582
	v_pk_fma_f32 v[4:5], v[4:5], s[78:79], v[8:9]              // 00000000B860: D3B04004 1C209D04
	v_pk_fma_f32 v[6:7], v[6:7], s[78:79], v[8:9]              // 00000000B868: D3B04006 1C209D06
	v_pk_mul_f32 v[4:5], v[4:5], v[128:129]                    // 00000000B870: D3B14004 18030104
	v_pk_mul_f32 v[6:7], v[6:7], v[130:131]                    // 00000000B878: D3B14006 18030506
	v_pk_mul_f32 v[4:5], v[4:5], s[60:61]                      // 00000000B880: D3B14004 18007904
	v_pk_mul_f32 v[6:7], v[6:7], s[60:61]                      // 00000000B888: D3B14006 18007906
	v_exp_f32_e32 v4, v4                                       // 00000000B890: 7E084104
	v_exp_f32_e32 v5, v5                                       // 00000000B894: 7E0A4105
	v_exp_f32_e32 v6, v6                                       // 00000000B898: 7E0C4106
	v_exp_f32_e32 v7, v7                                       // 00000000B89C: 7E0E4107
	v_add_f32_e64 v4, v4, 1.0                                  // 00000000B8A0: D1010004 0001E504
	v_add_f32_e64 v5, v5, 1.0                                  // 00000000B8A8: D1010005 0001E505
	v_add_f32_e64 v6, v6, 1.0                                  // 00000000B8B0: D1010006 0001E506
	v_add_f32_e64 v7, v7, 1.0                                  // 00000000B8B8: D1010007 0001E507
	v_rcp_f32_e32 v4, v4                                       // 00000000B8C0: 7E084504
	v_rcp_f32_e32 v5, v5                                       // 00000000B8C4: 7E0A4505
	v_rcp_f32_e32 v6, v6                                       // 00000000B8C8: 7E0C4506
	v_rcp_f32_e32 v7, v7                                       // 00000000B8CC: 7E0E4507
	v_mul_f32_e32 v128, v128, v4                               // 00000000B8D0: 0B000980
	v_mul_f32_e32 v129, v129, v5                               // 00000000B8D4: 0B020B81
	v_mul_f32_e32 v130, v130, v6                               // 00000000B8D8: 0B040D82
	v_mul_f32_e32 v131, v131, v7                               // 00000000B8DC: 0B060F83
	v_mul_f32_e32 v128, v128, v224                             // 00000000B8E0: 0B01C180
	v_mul_f32_e32 v129, v129, v225                             // 00000000B8E4: 0B03C381
	v_mul_f32_e32 v130, v130, v226                             // 00000000B8E8: 0B05C582
	v_mul_f32_e32 v131, v131, v227                             // 00000000B8EC: 0B07C783
	v_pk_mul_f32 v[4:5], v[132:133], v[132:133]                // 00000000B8F0: D3B14004 18030984
	v_pk_mul_f32 v[6:7], v[134:135], v[134:135]                // 00000000B8F8: D3B14006 18030D86
	v_pk_fma_f32 v[4:5], v[4:5], s[78:79], v[8:9]              // 00000000B900: D3B04004 1C209D04
	v_pk_fma_f32 v[6:7], v[6:7], s[78:79], v[8:9]              // 00000000B908: D3B04006 1C209D06
	v_pk_mul_f32 v[4:5], v[4:5], v[132:133]                    // 00000000B910: D3B14004 18030904
	v_pk_mul_f32 v[6:7], v[6:7], v[134:135]                    // 00000000B918: D3B14006 18030D06
	v_pk_mul_f32 v[4:5], v[4:5], s[60:61]                      // 00000000B920: D3B14004 18007904
	v_pk_mul_f32 v[6:7], v[6:7], s[60:61]                      // 00000000B928: D3B14006 18007906
	v_exp_f32_e32 v4, v4                                       // 00000000B930: 7E084104
	v_exp_f32_e32 v5, v5                                       // 00000000B934: 7E0A4105
	v_exp_f32_e32 v6, v6                                       // 00000000B938: 7E0C4106
	v_exp_f32_e32 v7, v7                                       // 00000000B93C: 7E0E4107
	v_add_f32_e64 v4, v4, 1.0                                  // 00000000B940: D1010004 0001E504
	v_add_f32_e64 v5, v5, 1.0                                  // 00000000B948: D1010005 0001E505
	v_add_f32_e64 v6, v6, 1.0                                  // 00000000B950: D1010006 0001E506
	v_add_f32_e64 v7, v7, 1.0                                  // 00000000B958: D1010007 0001E507
	v_rcp_f32_e32 v4, v4                                       // 00000000B960: 7E084504
	v_rcp_f32_e32 v5, v5                                       // 00000000B964: 7E0A4505
	v_rcp_f32_e32 v6, v6                                       // 00000000B968: 7E0C4506
	v_rcp_f32_e32 v7, v7                                       // 00000000B96C: 7E0E4507
	v_mul_f32_e32 v132, v132, v4                               // 00000000B970: 0B080984
	v_mul_f32_e32 v133, v133, v5                               // 00000000B974: 0B0A0B85
	v_mul_f32_e32 v134, v134, v6                               // 00000000B978: 0B0C0D86
	v_mul_f32_e32 v135, v135, v7                               // 00000000B97C: 0B0E0F87
	v_mul_f32_e32 v132, v132, v228                             // 00000000B980: 0B09C984
	v_mul_f32_e32 v133, v133, v229                             // 00000000B984: 0B0BCB85
	v_mul_f32_e32 v134, v134, v230                             // 00000000B988: 0B0DCD86
	v_mul_f32_e32 v135, v135, v231                             // 00000000B98C: 0B0FCF87
	v_pk_mul_f32 v[4:5], v[136:137], v[136:137]                // 00000000B990: D3B14004 18031188
	v_pk_mul_f32 v[6:7], v[138:139], v[138:139]                // 00000000B998: D3B14006 1803158A
	v_pk_fma_f32 v[4:5], v[4:5], s[78:79], v[8:9]              // 00000000B9A0: D3B04004 1C209D04
	v_pk_fma_f32 v[6:7], v[6:7], s[78:79], v[8:9]              // 00000000B9A8: D3B04006 1C209D06
	v_pk_mul_f32 v[4:5], v[4:5], v[136:137]                    // 00000000B9B0: D3B14004 18031104
	v_pk_mul_f32 v[6:7], v[6:7], v[138:139]                    // 00000000B9B8: D3B14006 18031506
	v_pk_mul_f32 v[4:5], v[4:5], s[60:61]                      // 00000000B9C0: D3B14004 18007904
	v_pk_mul_f32 v[6:7], v[6:7], s[60:61]                      // 00000000B9C8: D3B14006 18007906
	v_exp_f32_e32 v4, v4                                       // 00000000B9D0: 7E084104
	v_exp_f32_e32 v5, v5                                       // 00000000B9D4: 7E0A4105
	v_exp_f32_e32 v6, v6                                       // 00000000B9D8: 7E0C4106
	v_exp_f32_e32 v7, v7                                       // 00000000B9DC: 7E0E4107
	v_add_f32_e64 v4, v4, 1.0                                  // 00000000B9E0: D1010004 0001E504
	v_add_f32_e64 v5, v5, 1.0                                  // 00000000B9E8: D1010005 0001E505
	v_add_f32_e64 v6, v6, 1.0                                  // 00000000B9F0: D1010006 0001E506
	v_add_f32_e64 v7, v7, 1.0                                  // 00000000B9F8: D1010007 0001E507
	v_rcp_f32_e32 v4, v4                                       // 00000000BA00: 7E084504
	v_rcp_f32_e32 v5, v5                                       // 00000000BA04: 7E0A4505
	v_rcp_f32_e32 v6, v6                                       // 00000000BA08: 7E0C4506
	v_rcp_f32_e32 v7, v7                                       // 00000000BA0C: 7E0E4507
	v_mul_f32_e32 v136, v136, v4                               // 00000000BA10: 0B100988
	v_mul_f32_e32 v137, v137, v5                               // 00000000BA14: 0B120B89
	v_mul_f32_e32 v138, v138, v6                               // 00000000BA18: 0B140D8A
	v_mul_f32_e32 v139, v139, v7                               // 00000000BA1C: 0B160F8B
	v_mul_f32_e32 v136, v136, v232                             // 00000000BA20: 0B11D188
	v_mul_f32_e32 v137, v137, v233                             // 00000000BA24: 0B13D389
	v_mul_f32_e32 v138, v138, v234                             // 00000000BA28: 0B15D58A
	v_mul_f32_e32 v139, v139, v235                             // 00000000BA2C: 0B17D78B
	v_pk_mul_f32 v[4:5], v[140:141], v[140:141]                // 00000000BA30: D3B14004 1803198C
	v_pk_mul_f32 v[6:7], v[142:143], v[142:143]                // 00000000BA38: D3B14006 18031D8E
	v_pk_fma_f32 v[4:5], v[4:5], s[78:79], v[8:9]              // 00000000BA40: D3B04004 1C209D04
	v_pk_fma_f32 v[6:7], v[6:7], s[78:79], v[8:9]              // 00000000BA48: D3B04006 1C209D06
	v_pk_mul_f32 v[4:5], v[4:5], v[140:141]                    // 00000000BA50: D3B14004 18031904
	v_pk_mul_f32 v[6:7], v[6:7], v[142:143]                    // 00000000BA58: D3B14006 18031D06
	v_pk_mul_f32 v[4:5], v[4:5], s[60:61]                      // 00000000BA60: D3B14004 18007904
	v_pk_mul_f32 v[6:7], v[6:7], s[60:61]                      // 00000000BA68: D3B14006 18007906
	v_exp_f32_e32 v4, v4                                       // 00000000BA70: 7E084104
	v_exp_f32_e32 v5, v5                                       // 00000000BA74: 7E0A4105
	v_exp_f32_e32 v6, v6                                       // 00000000BA78: 7E0C4106
	v_exp_f32_e32 v7, v7                                       // 00000000BA7C: 7E0E4107
	v_add_f32_e64 v4, v4, 1.0                                  // 00000000BA80: D1010004 0001E504
	v_add_f32_e64 v5, v5, 1.0                                  // 00000000BA88: D1010005 0001E505
	v_add_f32_e64 v6, v6, 1.0                                  // 00000000BA90: D1010006 0001E506
	v_add_f32_e64 v7, v7, 1.0                                  // 00000000BA98: D1010007 0001E507
	v_rcp_f32_e32 v4, v4                                       // 00000000BAA0: 7E084504
	v_rcp_f32_e32 v5, v5                                       // 00000000BAA4: 7E0A4505
	v_rcp_f32_e32 v6, v6                                       // 00000000BAA8: 7E0C4506
	v_rcp_f32_e32 v7, v7                                       // 00000000BAAC: 7E0E4507
	v_mul_f32_e32 v140, v140, v4                               // 00000000BAB0: 0B18098C
	v_mul_f32_e32 v141, v141, v5                               // 00000000BAB4: 0B1A0B8D
	v_mul_f32_e32 v142, v142, v6                               // 00000000BAB8: 0B1C0D8E
	v_mul_f32_e32 v143, v143, v7                               // 00000000BABC: 0B1E0F8F
	v_mul_f32_e32 v140, v140, v236                             // 00000000BAC0: 0B19D98C
	v_mul_f32_e32 v141, v141, v237                             // 00000000BAC4: 0B1BDB8D
	v_mul_f32_e32 v142, v142, v238                             // 00000000BAC8: 0B1DDD8E
	v_mul_f32_e32 v143, v143, v239                             // 00000000BACC: 0B1FDF8F
	v_pk_mul_f32 v[4:5], v[144:145], v[144:145]                // 00000000BAD0: D3B14004 18032190
	v_pk_mul_f32 v[6:7], v[146:147], v[146:147]                // 00000000BAD8: D3B14006 18032592
	v_pk_fma_f32 v[4:5], v[4:5], s[78:79], v[8:9]              // 00000000BAE0: D3B04004 1C209D04
	v_pk_fma_f32 v[6:7], v[6:7], s[78:79], v[8:9]              // 00000000BAE8: D3B04006 1C209D06
	v_pk_mul_f32 v[4:5], v[4:5], v[144:145]                    // 00000000BAF0: D3B14004 18032104
	v_pk_mul_f32 v[6:7], v[6:7], v[146:147]                    // 00000000BAF8: D3B14006 18032506
	v_pk_mul_f32 v[4:5], v[4:5], s[60:61]                      // 00000000BB00: D3B14004 18007904
	v_pk_mul_f32 v[6:7], v[6:7], s[60:61]                      // 00000000BB08: D3B14006 18007906
	v_exp_f32_e32 v4, v4                                       // 00000000BB10: 7E084104
	v_exp_f32_e32 v5, v5                                       // 00000000BB14: 7E0A4105
	v_exp_f32_e32 v6, v6                                       // 00000000BB18: 7E0C4106
	v_exp_f32_e32 v7, v7                                       // 00000000BB1C: 7E0E4107
	v_add_f32_e64 v4, v4, 1.0                                  // 00000000BB20: D1010004 0001E504
	v_add_f32_e64 v5, v5, 1.0                                  // 00000000BB28: D1010005 0001E505
	v_add_f32_e64 v6, v6, 1.0                                  // 00000000BB30: D1010006 0001E506
	v_add_f32_e64 v7, v7, 1.0                                  // 00000000BB38: D1010007 0001E507
	v_rcp_f32_e32 v4, v4                                       // 00000000BB40: 7E084504
	v_rcp_f32_e32 v5, v5                                       // 00000000BB44: 7E0A4505
	v_rcp_f32_e32 v6, v6                                       // 00000000BB48: 7E0C4506
	v_rcp_f32_e32 v7, v7                                       // 00000000BB4C: 7E0E4507
	v_mul_f32_e32 v144, v144, v4                               // 00000000BB50: 0B200990
	v_mul_f32_e32 v145, v145, v5                               // 00000000BB54: 0B220B91
	v_mul_f32_e32 v146, v146, v6                               // 00000000BB58: 0B240D92
	v_mul_f32_e32 v147, v147, v7                               // 00000000BB5C: 0B260F93
	v_mul_f32_e32 v144, v144, v240                             // 00000000BB60: 0B21E190
	v_mul_f32_e32 v145, v145, v241                             // 00000000BB64: 0B23E391
	v_mul_f32_e32 v146, v146, v242                             // 00000000BB68: 0B25E592
	v_mul_f32_e32 v147, v147, v243                             // 00000000BB6C: 0B27E793
	v_pk_mul_f32 v[4:5], v[148:149], v[148:149]                // 00000000BB70: D3B14004 18032994
	v_pk_mul_f32 v[6:7], v[150:151], v[150:151]                // 00000000BB78: D3B14006 18032D96
	v_pk_fma_f32 v[4:5], v[4:5], s[78:79], v[8:9]              // 00000000BB80: D3B04004 1C209D04
	v_pk_fma_f32 v[6:7], v[6:7], s[78:79], v[8:9]              // 00000000BB88: D3B04006 1C209D06
	v_pk_mul_f32 v[4:5], v[4:5], v[148:149]                    // 00000000BB90: D3B14004 18032904
	v_pk_mul_f32 v[6:7], v[6:7], v[150:151]                    // 00000000BB98: D3B14006 18032D06
	v_pk_mul_f32 v[4:5], v[4:5], s[60:61]                      // 00000000BBA0: D3B14004 18007904
	v_pk_mul_f32 v[6:7], v[6:7], s[60:61]                      // 00000000BBA8: D3B14006 18007906
	v_exp_f32_e32 v4, v4                                       // 00000000BBB0: 7E084104
	v_exp_f32_e32 v5, v5                                       // 00000000BBB4: 7E0A4105
	v_exp_f32_e32 v6, v6                                       // 00000000BBB8: 7E0C4106
	v_exp_f32_e32 v7, v7                                       // 00000000BBBC: 7E0E4107
	v_add_f32_e64 v4, v4, 1.0                                  // 00000000BBC0: D1010004 0001E504
	v_add_f32_e64 v5, v5, 1.0                                  // 00000000BBC8: D1010005 0001E505
	v_add_f32_e64 v6, v6, 1.0                                  // 00000000BBD0: D1010006 0001E506
	v_add_f32_e64 v7, v7, 1.0                                  // 00000000BBD8: D1010007 0001E507
	v_rcp_f32_e32 v4, v4                                       // 00000000BBE0: 7E084504
	v_rcp_f32_e32 v5, v5                                       // 00000000BBE4: 7E0A4505
	v_rcp_f32_e32 v6, v6                                       // 00000000BBE8: 7E0C4506
	v_rcp_f32_e32 v7, v7                                       // 00000000BBEC: 7E0E4507
	v_mul_f32_e32 v148, v148, v4                               // 00000000BBF0: 0B280994
	v_mul_f32_e32 v149, v149, v5                               // 00000000BBF4: 0B2A0B95
	v_mul_f32_e32 v150, v150, v6                               // 00000000BBF8: 0B2C0D96
	v_mul_f32_e32 v151, v151, v7                               // 00000000BBFC: 0B2E0F97
	v_mul_f32_e32 v148, v148, v244                             // 00000000BC00: 0B29E994
	v_mul_f32_e32 v149, v149, v245                             // 00000000BC04: 0B2BEB95
	v_mul_f32_e32 v150, v150, v246                             // 00000000BC08: 0B2DED96
	v_mul_f32_e32 v151, v151, v247                             // 00000000BC0C: 0B2FEF97
	s_branch label_2788                                        // 00000000BC10: BF820300

000000000000bc14 <label_2488>:
	v_mul_f32_e64 v4, -v56, s6                                 // 00000000BC14: D1050004 20000D38
	v_mul_f32_e64 v5, -v57, s6                                 // 00000000BC1C: D1050005 20000D39
	v_mul_f32_e64 v6, -v58, s6                                 // 00000000BC24: D1050006 20000D3A
	v_mul_f32_e64 v7, -v59, s6                                 // 00000000BC2C: D1050007 20000D3B
	v_exp_f32_e32 v4, v4                                       // 00000000BC34: 7E084104
	v_exp_f32_e32 v5, v5                                       // 00000000BC38: 7E0A4105
	v_exp_f32_e32 v6, v6                                       // 00000000BC3C: 7E0C4106
	v_exp_f32_e32 v7, v7                                       // 00000000BC40: 7E0E4107
	v_add_f32_e64 v4, v4, 1.0                                  // 00000000BC44: D1010004 0001E504
	v_add_f32_e64 v5, v5, 1.0                                  // 00000000BC4C: D1010005 0001E505
	v_add_f32_e64 v6, v6, 1.0                                  // 00000000BC54: D1010006 0001E506
	v_add_f32_e64 v7, v7, 1.0                                  // 00000000BC5C: D1010007 0001E507
	v_rcp_f32_e32 v4, v4                                       // 00000000BC64: 7E084504
	v_rcp_f32_e32 v5, v5                                       // 00000000BC68: 7E0A4505
	v_rcp_f32_e32 v6, v6                                       // 00000000BC6C: 7E0C4506
	v_rcp_f32_e32 v7, v7                                       // 00000000BC70: 7E0E4507
	v_mul_f32_e32 v56, v56, v4                                 // 00000000BC74: 0A700938
	v_mul_f32_e32 v57, v57, v5                                 // 00000000BC78: 0A720B39
	v_mul_f32_e32 v58, v58, v6                                 // 00000000BC7C: 0A740D3A
	v_mul_f32_e32 v59, v59, v7                                 // 00000000BC80: 0A760F3B
	v_mul_f32_e32 v56, v56, v152                               // 00000000BC84: 0A713138
	v_mul_f32_e32 v57, v57, v153                               // 00000000BC88: 0A733339
	v_mul_f32_e32 v58, v58, v154                               // 00000000BC8C: 0A75353A
	v_mul_f32_e32 v59, v59, v155                               // 00000000BC90: 0A77373B
	v_mul_f32_e64 v4, -v60, s6                                 // 00000000BC94: D1050004 20000D3C
	v_mul_f32_e64 v5, -v61, s6                                 // 00000000BC9C: D1050005 20000D3D
	v_mul_f32_e64 v6, -v62, s6                                 // 00000000BCA4: D1050006 20000D3E
	v_mul_f32_e64 v7, -v63, s6                                 // 00000000BCAC: D1050007 20000D3F
	v_exp_f32_e32 v4, v4                                       // 00000000BCB4: 7E084104
	v_exp_f32_e32 v5, v5                                       // 00000000BCB8: 7E0A4105
	v_exp_f32_e32 v6, v6                                       // 00000000BCBC: 7E0C4106
	v_exp_f32_e32 v7, v7                                       // 00000000BCC0: 7E0E4107
	v_add_f32_e64 v4, v4, 1.0                                  // 00000000BCC4: D1010004 0001E504
	v_add_f32_e64 v5, v5, 1.0                                  // 00000000BCCC: D1010005 0001E505
	v_add_f32_e64 v6, v6, 1.0                                  // 00000000BCD4: D1010006 0001E506
	v_add_f32_e64 v7, v7, 1.0                                  // 00000000BCDC: D1010007 0001E507
	v_rcp_f32_e32 v4, v4                                       // 00000000BCE4: 7E084504
	v_rcp_f32_e32 v5, v5                                       // 00000000BCE8: 7E0A4505
	v_rcp_f32_e32 v6, v6                                       // 00000000BCEC: 7E0C4506
	v_rcp_f32_e32 v7, v7                                       // 00000000BCF0: 7E0E4507
	v_mul_f32_e32 v60, v60, v4                                 // 00000000BCF4: 0A78093C
	v_mul_f32_e32 v61, v61, v5                                 // 00000000BCF8: 0A7A0B3D
	v_mul_f32_e32 v62, v62, v6                                 // 00000000BCFC: 0A7C0D3E
	v_mul_f32_e32 v63, v63, v7                                 // 00000000BD00: 0A7E0F3F
	v_mul_f32_e32 v60, v60, v156                               // 00000000BD04: 0A79393C
	v_mul_f32_e32 v61, v61, v157                               // 00000000BD08: 0A7B3B3D
	v_mul_f32_e32 v62, v62, v158                               // 00000000BD0C: 0A7D3D3E
	v_mul_f32_e32 v63, v63, v159                               // 00000000BD10: 0A7F3F3F
	v_mul_f32_e64 v4, -v64, s6                                 // 00000000BD14: D1050004 20000D40
	v_mul_f32_e64 v5, -v65, s6                                 // 00000000BD1C: D1050005 20000D41
	v_mul_f32_e64 v6, -v66, s6                                 // 00000000BD24: D1050006 20000D42
	v_mul_f32_e64 v7, -v67, s6                                 // 00000000BD2C: D1050007 20000D43
	v_exp_f32_e32 v4, v4                                       // 00000000BD34: 7E084104
	v_exp_f32_e32 v5, v5                                       // 00000000BD38: 7E0A4105
	v_exp_f32_e32 v6, v6                                       // 00000000BD3C: 7E0C4106
	v_exp_f32_e32 v7, v7                                       // 00000000BD40: 7E0E4107
	v_add_f32_e64 v4, v4, 1.0                                  // 00000000BD44: D1010004 0001E504
	v_add_f32_e64 v5, v5, 1.0                                  // 00000000BD4C: D1010005 0001E505
	v_add_f32_e64 v6, v6, 1.0                                  // 00000000BD54: D1010006 0001E506
	v_add_f32_e64 v7, v7, 1.0                                  // 00000000BD5C: D1010007 0001E507
	v_rcp_f32_e32 v4, v4                                       // 00000000BD64: 7E084504
	v_rcp_f32_e32 v5, v5                                       // 00000000BD68: 7E0A4505
	v_rcp_f32_e32 v6, v6                                       // 00000000BD6C: 7E0C4506
	v_rcp_f32_e32 v7, v7                                       // 00000000BD70: 7E0E4507
	v_mul_f32_e32 v64, v64, v4                                 // 00000000BD74: 0A800940
	v_mul_f32_e32 v65, v65, v5                                 // 00000000BD78: 0A820B41
	v_mul_f32_e32 v66, v66, v6                                 // 00000000BD7C: 0A840D42
	v_mul_f32_e32 v67, v67, v7                                 // 00000000BD80: 0A860F43
	v_mul_f32_e32 v64, v64, v160                               // 00000000BD84: 0A814140
	v_mul_f32_e32 v65, v65, v161                               // 00000000BD88: 0A834341
	v_mul_f32_e32 v66, v66, v162                               // 00000000BD8C: 0A854542
	v_mul_f32_e32 v67, v67, v163                               // 00000000BD90: 0A874743
	v_mul_f32_e64 v4, -v68, s6                                 // 00000000BD94: D1050004 20000D44
	v_mul_f32_e64 v5, -v69, s6                                 // 00000000BD9C: D1050005 20000D45
	v_mul_f32_e64 v6, -v70, s6                                 // 00000000BDA4: D1050006 20000D46
	v_mul_f32_e64 v7, -v71, s6                                 // 00000000BDAC: D1050007 20000D47
	v_exp_f32_e32 v4, v4                                       // 00000000BDB4: 7E084104
	v_exp_f32_e32 v5, v5                                       // 00000000BDB8: 7E0A4105
	v_exp_f32_e32 v6, v6                                       // 00000000BDBC: 7E0C4106
	v_exp_f32_e32 v7, v7                                       // 00000000BDC0: 7E0E4107
	v_add_f32_e64 v4, v4, 1.0                                  // 00000000BDC4: D1010004 0001E504
	v_add_f32_e64 v5, v5, 1.0                                  // 00000000BDCC: D1010005 0001E505
	v_add_f32_e64 v6, v6, 1.0                                  // 00000000BDD4: D1010006 0001E506
	v_add_f32_e64 v7, v7, 1.0                                  // 00000000BDDC: D1010007 0001E507
	v_rcp_f32_e32 v4, v4                                       // 00000000BDE4: 7E084504
	v_rcp_f32_e32 v5, v5                                       // 00000000BDE8: 7E0A4505
	v_rcp_f32_e32 v6, v6                                       // 00000000BDEC: 7E0C4506
	v_rcp_f32_e32 v7, v7                                       // 00000000BDF0: 7E0E4507
	v_mul_f32_e32 v68, v68, v4                                 // 00000000BDF4: 0A880944
	v_mul_f32_e32 v69, v69, v5                                 // 00000000BDF8: 0A8A0B45
	v_mul_f32_e32 v70, v70, v6                                 // 00000000BDFC: 0A8C0D46
	v_mul_f32_e32 v71, v71, v7                                 // 00000000BE00: 0A8E0F47
	v_mul_f32_e32 v68, v68, v164                               // 00000000BE04: 0A894944
	v_mul_f32_e32 v69, v69, v165                               // 00000000BE08: 0A8B4B45
	v_mul_f32_e32 v70, v70, v166                               // 00000000BE0C: 0A8D4D46
	v_mul_f32_e32 v71, v71, v167                               // 00000000BE10: 0A8F4F47
	v_mul_f32_e64 v4, -v72, s6                                 // 00000000BE14: D1050004 20000D48
	v_mul_f32_e64 v5, -v73, s6                                 // 00000000BE1C: D1050005 20000D49
	v_mul_f32_e64 v6, -v74, s6                                 // 00000000BE24: D1050006 20000D4A
	v_mul_f32_e64 v7, -v75, s6                                 // 00000000BE2C: D1050007 20000D4B
	v_exp_f32_e32 v4, v4                                       // 00000000BE34: 7E084104
	v_exp_f32_e32 v5, v5                                       // 00000000BE38: 7E0A4105
	v_exp_f32_e32 v6, v6                                       // 00000000BE3C: 7E0C4106
	v_exp_f32_e32 v7, v7                                       // 00000000BE40: 7E0E4107
	v_add_f32_e64 v4, v4, 1.0                                  // 00000000BE44: D1010004 0001E504
	v_add_f32_e64 v5, v5, 1.0                                  // 00000000BE4C: D1010005 0001E505
	v_add_f32_e64 v6, v6, 1.0                                  // 00000000BE54: D1010006 0001E506
	v_add_f32_e64 v7, v7, 1.0                                  // 00000000BE5C: D1010007 0001E507
	v_rcp_f32_e32 v4, v4                                       // 00000000BE64: 7E084504
	v_rcp_f32_e32 v5, v5                                       // 00000000BE68: 7E0A4505
	v_rcp_f32_e32 v6, v6                                       // 00000000BE6C: 7E0C4506
	v_rcp_f32_e32 v7, v7                                       // 00000000BE70: 7E0E4507
	v_mul_f32_e32 v72, v72, v4                                 // 00000000BE74: 0A900948
	v_mul_f32_e32 v73, v73, v5                                 // 00000000BE78: 0A920B49
	v_mul_f32_e32 v74, v74, v6                                 // 00000000BE7C: 0A940D4A
	v_mul_f32_e32 v75, v75, v7                                 // 00000000BE80: 0A960F4B
	v_mul_f32_e32 v72, v72, v168                               // 00000000BE84: 0A915148
	v_mul_f32_e32 v73, v73, v169                               // 00000000BE88: 0A935349
	v_mul_f32_e32 v74, v74, v170                               // 00000000BE8C: 0A95554A
	v_mul_f32_e32 v75, v75, v171                               // 00000000BE90: 0A97574B
	v_mul_f32_e64 v4, -v76, s6                                 // 00000000BE94: D1050004 20000D4C
	v_mul_f32_e64 v5, -v77, s6                                 // 00000000BE9C: D1050005 20000D4D
	v_mul_f32_e64 v6, -v78, s6                                 // 00000000BEA4: D1050006 20000D4E
	v_mul_f32_e64 v7, -v79, s6                                 // 00000000BEAC: D1050007 20000D4F
	v_exp_f32_e32 v4, v4                                       // 00000000BEB4: 7E084104
	v_exp_f32_e32 v5, v5                                       // 00000000BEB8: 7E0A4105
	v_exp_f32_e32 v6, v6                                       // 00000000BEBC: 7E0C4106
	v_exp_f32_e32 v7, v7                                       // 00000000BEC0: 7E0E4107
	v_add_f32_e64 v4, v4, 1.0                                  // 00000000BEC4: D1010004 0001E504
	v_add_f32_e64 v5, v5, 1.0                                  // 00000000BECC: D1010005 0001E505
	v_add_f32_e64 v6, v6, 1.0                                  // 00000000BED4: D1010006 0001E506
	v_add_f32_e64 v7, v7, 1.0                                  // 00000000BEDC: D1010007 0001E507
	v_rcp_f32_e32 v4, v4                                       // 00000000BEE4: 7E084504
	v_rcp_f32_e32 v5, v5                                       // 00000000BEE8: 7E0A4505
	v_rcp_f32_e32 v6, v6                                       // 00000000BEEC: 7E0C4506
	v_rcp_f32_e32 v7, v7                                       // 00000000BEF0: 7E0E4507
	v_mul_f32_e32 v76, v76, v4                                 // 00000000BEF4: 0A98094C
	v_mul_f32_e32 v77, v77, v5                                 // 00000000BEF8: 0A9A0B4D
	v_mul_f32_e32 v78, v78, v6                                 // 00000000BEFC: 0A9C0D4E
	v_mul_f32_e32 v79, v79, v7                                 // 00000000BF00: 0A9E0F4F
	v_mul_f32_e32 v76, v76, v172                               // 00000000BF04: 0A99594C
	v_mul_f32_e32 v77, v77, v173                               // 00000000BF08: 0A9B5B4D
	v_mul_f32_e32 v78, v78, v174                               // 00000000BF0C: 0A9D5D4E
	v_mul_f32_e32 v79, v79, v175                               // 00000000BF10: 0A9F5F4F
	v_mul_f32_e64 v4, -v80, s6                                 // 00000000BF14: D1050004 20000D50
	v_mul_f32_e64 v5, -v81, s6                                 // 00000000BF1C: D1050005 20000D51
	v_mul_f32_e64 v6, -v82, s6                                 // 00000000BF24: D1050006 20000D52
	v_mul_f32_e64 v7, -v83, s6                                 // 00000000BF2C: D1050007 20000D53
	v_exp_f32_e32 v4, v4                                       // 00000000BF34: 7E084104
	v_exp_f32_e32 v5, v5                                       // 00000000BF38: 7E0A4105
	v_exp_f32_e32 v6, v6                                       // 00000000BF3C: 7E0C4106
	v_exp_f32_e32 v7, v7                                       // 00000000BF40: 7E0E4107
	v_add_f32_e64 v4, v4, 1.0                                  // 00000000BF44: D1010004 0001E504
	v_add_f32_e64 v5, v5, 1.0                                  // 00000000BF4C: D1010005 0001E505
	v_add_f32_e64 v6, v6, 1.0                                  // 00000000BF54: D1010006 0001E506
	v_add_f32_e64 v7, v7, 1.0                                  // 00000000BF5C: D1010007 0001E507
	v_rcp_f32_e32 v4, v4                                       // 00000000BF64: 7E084504
	v_rcp_f32_e32 v5, v5                                       // 00000000BF68: 7E0A4505
	v_rcp_f32_e32 v6, v6                                       // 00000000BF6C: 7E0C4506
	v_rcp_f32_e32 v7, v7                                       // 00000000BF70: 7E0E4507
	v_mul_f32_e32 v80, v80, v4                                 // 00000000BF74: 0AA00950
	v_mul_f32_e32 v81, v81, v5                                 // 00000000BF78: 0AA20B51
	v_mul_f32_e32 v82, v82, v6                                 // 00000000BF7C: 0AA40D52
	v_mul_f32_e32 v83, v83, v7                                 // 00000000BF80: 0AA60F53
	v_mul_f32_e32 v80, v80, v176                               // 00000000BF84: 0AA16150
	v_mul_f32_e32 v81, v81, v177                               // 00000000BF88: 0AA36351
	v_mul_f32_e32 v82, v82, v178                               // 00000000BF8C: 0AA56552
	v_mul_f32_e32 v83, v83, v179                               // 00000000BF90: 0AA76753
	v_mul_f32_e64 v4, -v84, s6                                 // 00000000BF94: D1050004 20000D54
	v_mul_f32_e64 v5, -v85, s6                                 // 00000000BF9C: D1050005 20000D55
	v_mul_f32_e64 v6, -v86, s6                                 // 00000000BFA4: D1050006 20000D56
	v_mul_f32_e64 v7, -v87, s6                                 // 00000000BFAC: D1050007 20000D57
	v_exp_f32_e32 v4, v4                                       // 00000000BFB4: 7E084104
	v_exp_f32_e32 v5, v5                                       // 00000000BFB8: 7E0A4105
	v_exp_f32_e32 v6, v6                                       // 00000000BFBC: 7E0C4106
	v_exp_f32_e32 v7, v7                                       // 00000000BFC0: 7E0E4107
	v_add_f32_e64 v4, v4, 1.0                                  // 00000000BFC4: D1010004 0001E504
	v_add_f32_e64 v5, v5, 1.0                                  // 00000000BFCC: D1010005 0001E505
	v_add_f32_e64 v6, v6, 1.0                                  // 00000000BFD4: D1010006 0001E506
	v_add_f32_e64 v7, v7, 1.0                                  // 00000000BFDC: D1010007 0001E507
	v_rcp_f32_e32 v4, v4                                       // 00000000BFE4: 7E084504
	v_rcp_f32_e32 v5, v5                                       // 00000000BFE8: 7E0A4505
	v_rcp_f32_e32 v6, v6                                       // 00000000BFEC: 7E0C4506
	v_rcp_f32_e32 v7, v7                                       // 00000000BFF0: 7E0E4507
	v_mul_f32_e32 v84, v84, v4                                 // 00000000BFF4: 0AA80954
	v_mul_f32_e32 v85, v85, v5                                 // 00000000BFF8: 0AAA0B55
	v_mul_f32_e32 v86, v86, v6                                 // 00000000BFFC: 0AAC0D56
	v_mul_f32_e32 v87, v87, v7                                 // 00000000C000: 0AAE0F57
	v_mul_f32_e32 v84, v84, v180                               // 00000000C004: 0AA96954
	v_mul_f32_e32 v85, v85, v181                               // 00000000C008: 0AAB6B55
	v_mul_f32_e32 v86, v86, v182                               // 00000000C00C: 0AAD6D56
	v_mul_f32_e32 v87, v87, v183                               // 00000000C010: 0AAF6F57
	v_mul_f32_e64 v4, -v88, s6                                 // 00000000C014: D1050004 20000D58
	v_mul_f32_e64 v5, -v89, s6                                 // 00000000C01C: D1050005 20000D59
	v_mul_f32_e64 v6, -v90, s6                                 // 00000000C024: D1050006 20000D5A
	v_mul_f32_e64 v7, -v91, s6                                 // 00000000C02C: D1050007 20000D5B
	v_exp_f32_e32 v4, v4                                       // 00000000C034: 7E084104
	v_exp_f32_e32 v5, v5                                       // 00000000C038: 7E0A4105
	v_exp_f32_e32 v6, v6                                       // 00000000C03C: 7E0C4106
	v_exp_f32_e32 v7, v7                                       // 00000000C040: 7E0E4107
	v_add_f32_e64 v4, v4, 1.0                                  // 00000000C044: D1010004 0001E504
	v_add_f32_e64 v5, v5, 1.0                                  // 00000000C04C: D1010005 0001E505
	v_add_f32_e64 v6, v6, 1.0                                  // 00000000C054: D1010006 0001E506
	v_add_f32_e64 v7, v7, 1.0                                  // 00000000C05C: D1010007 0001E507
	v_rcp_f32_e32 v4, v4                                       // 00000000C064: 7E084504
	v_rcp_f32_e32 v5, v5                                       // 00000000C068: 7E0A4505
	v_rcp_f32_e32 v6, v6                                       // 00000000C06C: 7E0C4506
	v_rcp_f32_e32 v7, v7                                       // 00000000C070: 7E0E4507
	v_mul_f32_e32 v88, v88, v4                                 // 00000000C074: 0AB00958
	v_mul_f32_e32 v89, v89, v5                                 // 00000000C078: 0AB20B59
	v_mul_f32_e32 v90, v90, v6                                 // 00000000C07C: 0AB40D5A
	v_mul_f32_e32 v91, v91, v7                                 // 00000000C080: 0AB60F5B
	v_mul_f32_e32 v88, v88, v184                               // 00000000C084: 0AB17158
	v_mul_f32_e32 v89, v89, v185                               // 00000000C088: 0AB37359
	v_mul_f32_e32 v90, v90, v186                               // 00000000C08C: 0AB5755A
	v_mul_f32_e32 v91, v91, v187                               // 00000000C090: 0AB7775B
	v_mul_f32_e64 v4, -v92, s6                                 // 00000000C094: D1050004 20000D5C
	v_mul_f32_e64 v5, -v93, s6                                 // 00000000C09C: D1050005 20000D5D
	v_mul_f32_e64 v6, -v94, s6                                 // 00000000C0A4: D1050006 20000D5E
	v_mul_f32_e64 v7, -v95, s6                                 // 00000000C0AC: D1050007 20000D5F
	v_exp_f32_e32 v4, v4                                       // 00000000C0B4: 7E084104
	v_exp_f32_e32 v5, v5                                       // 00000000C0B8: 7E0A4105
	v_exp_f32_e32 v6, v6                                       // 00000000C0BC: 7E0C4106
	v_exp_f32_e32 v7, v7                                       // 00000000C0C0: 7E0E4107
	v_add_f32_e64 v4, v4, 1.0                                  // 00000000C0C4: D1010004 0001E504
	v_add_f32_e64 v5, v5, 1.0                                  // 00000000C0CC: D1010005 0001E505
	v_add_f32_e64 v6, v6, 1.0                                  // 00000000C0D4: D1010006 0001E506
	v_add_f32_e64 v7, v7, 1.0                                  // 00000000C0DC: D1010007 0001E507
	v_rcp_f32_e32 v4, v4                                       // 00000000C0E4: 7E084504
	v_rcp_f32_e32 v5, v5                                       // 00000000C0E8: 7E0A4505
	v_rcp_f32_e32 v6, v6                                       // 00000000C0EC: 7E0C4506
	v_rcp_f32_e32 v7, v7                                       // 00000000C0F0: 7E0E4507
	v_mul_f32_e32 v92, v92, v4                                 // 00000000C0F4: 0AB8095C
	v_mul_f32_e32 v93, v93, v5                                 // 00000000C0F8: 0ABA0B5D
	v_mul_f32_e32 v94, v94, v6                                 // 00000000C0FC: 0ABC0D5E
	v_mul_f32_e32 v95, v95, v7                                 // 00000000C100: 0ABE0F5F
	v_mul_f32_e32 v92, v92, v188                               // 00000000C104: 0AB9795C
	v_mul_f32_e32 v93, v93, v189                               // 00000000C108: 0ABB7B5D
	v_mul_f32_e32 v94, v94, v190                               // 00000000C10C: 0ABD7D5E
	v_mul_f32_e32 v95, v95, v191                               // 00000000C110: 0ABF7F5F
	v_mul_f32_e64 v4, -v96, s6                                 // 00000000C114: D1050004 20000D60
	v_mul_f32_e64 v5, -v97, s6                                 // 00000000C11C: D1050005 20000D61
	v_mul_f32_e64 v6, -v98, s6                                 // 00000000C124: D1050006 20000D62
	v_mul_f32_e64 v7, -v99, s6                                 // 00000000C12C: D1050007 20000D63
	v_exp_f32_e32 v4, v4                                       // 00000000C134: 7E084104
	v_exp_f32_e32 v5, v5                                       // 00000000C138: 7E0A4105
	v_exp_f32_e32 v6, v6                                       // 00000000C13C: 7E0C4106
	v_exp_f32_e32 v7, v7                                       // 00000000C140: 7E0E4107
	v_add_f32_e64 v4, v4, 1.0                                  // 00000000C144: D1010004 0001E504
	v_add_f32_e64 v5, v5, 1.0                                  // 00000000C14C: D1010005 0001E505
	v_add_f32_e64 v6, v6, 1.0                                  // 00000000C154: D1010006 0001E506
	v_add_f32_e64 v7, v7, 1.0                                  // 00000000C15C: D1010007 0001E507
	v_rcp_f32_e32 v4, v4                                       // 00000000C164: 7E084504
	v_rcp_f32_e32 v5, v5                                       // 00000000C168: 7E0A4505
	v_rcp_f32_e32 v6, v6                                       // 00000000C16C: 7E0C4506
	v_rcp_f32_e32 v7, v7                                       // 00000000C170: 7E0E4507
	v_mul_f32_e32 v96, v96, v4                                 // 00000000C174: 0AC00960
	v_mul_f32_e32 v97, v97, v5                                 // 00000000C178: 0AC20B61
	v_mul_f32_e32 v98, v98, v6                                 // 00000000C17C: 0AC40D62
	v_mul_f32_e32 v99, v99, v7                                 // 00000000C180: 0AC60F63
	v_mul_f32_e32 v96, v96, v192                               // 00000000C184: 0AC18160
	v_mul_f32_e32 v97, v97, v193                               // 00000000C188: 0AC38361
	v_mul_f32_e32 v98, v98, v194                               // 00000000C18C: 0AC58562
	v_mul_f32_e32 v99, v99, v195                               // 00000000C190: 0AC78763
	v_mul_f32_e64 v4, -v100, s6                                // 00000000C194: D1050004 20000D64
	v_mul_f32_e64 v5, -v101, s6                                // 00000000C19C: D1050005 20000D65
	v_mul_f32_e64 v6, -v102, s6                                // 00000000C1A4: D1050006 20000D66
	v_mul_f32_e64 v7, -v103, s6                                // 00000000C1AC: D1050007 20000D67
	v_exp_f32_e32 v4, v4                                       // 00000000C1B4: 7E084104
	v_exp_f32_e32 v5, v5                                       // 00000000C1B8: 7E0A4105
	v_exp_f32_e32 v6, v6                                       // 00000000C1BC: 7E0C4106
	v_exp_f32_e32 v7, v7                                       // 00000000C1C0: 7E0E4107
	v_add_f32_e64 v4, v4, 1.0                                  // 00000000C1C4: D1010004 0001E504
	v_add_f32_e64 v5, v5, 1.0                                  // 00000000C1CC: D1010005 0001E505
	v_add_f32_e64 v6, v6, 1.0                                  // 00000000C1D4: D1010006 0001E506
	v_add_f32_e64 v7, v7, 1.0                                  // 00000000C1DC: D1010007 0001E507
	v_rcp_f32_e32 v4, v4                                       // 00000000C1E4: 7E084504
	v_rcp_f32_e32 v5, v5                                       // 00000000C1E8: 7E0A4505
	v_rcp_f32_e32 v6, v6                                       // 00000000C1EC: 7E0C4506
	v_rcp_f32_e32 v7, v7                                       // 00000000C1F0: 7E0E4507
	v_mul_f32_e32 v100, v100, v4                               // 00000000C1F4: 0AC80964
	v_mul_f32_e32 v101, v101, v5                               // 00000000C1F8: 0ACA0B65
	v_mul_f32_e32 v102, v102, v6                               // 00000000C1FC: 0ACC0D66
	v_mul_f32_e32 v103, v103, v7                               // 00000000C200: 0ACE0F67
	v_mul_f32_e32 v100, v100, v196                             // 00000000C204: 0AC98964
	v_mul_f32_e32 v101, v101, v197                             // 00000000C208: 0ACB8B65
	v_mul_f32_e32 v102, v102, v198                             // 00000000C20C: 0ACD8D66
	v_mul_f32_e32 v103, v103, v199                             // 00000000C210: 0ACF8F67
	v_mul_f32_e64 v4, -v104, s6                                // 00000000C214: D1050004 20000D68
	v_mul_f32_e64 v5, -v105, s6                                // 00000000C21C: D1050005 20000D69
	v_mul_f32_e64 v6, -v106, s6                                // 00000000C224: D1050006 20000D6A
	v_mul_f32_e64 v7, -v107, s6                                // 00000000C22C: D1050007 20000D6B
	v_exp_f32_e32 v4, v4                                       // 00000000C234: 7E084104
	v_exp_f32_e32 v5, v5                                       // 00000000C238: 7E0A4105
	v_exp_f32_e32 v6, v6                                       // 00000000C23C: 7E0C4106
	v_exp_f32_e32 v7, v7                                       // 00000000C240: 7E0E4107
	v_add_f32_e64 v4, v4, 1.0                                  // 00000000C244: D1010004 0001E504
	v_add_f32_e64 v5, v5, 1.0                                  // 00000000C24C: D1010005 0001E505
	v_add_f32_e64 v6, v6, 1.0                                  // 00000000C254: D1010006 0001E506
	v_add_f32_e64 v7, v7, 1.0                                  // 00000000C25C: D1010007 0001E507
	v_rcp_f32_e32 v4, v4                                       // 00000000C264: 7E084504
	v_rcp_f32_e32 v5, v5                                       // 00000000C268: 7E0A4505
	v_rcp_f32_e32 v6, v6                                       // 00000000C26C: 7E0C4506
	v_rcp_f32_e32 v7, v7                                       // 00000000C270: 7E0E4507
	v_mul_f32_e32 v104, v104, v4                               // 00000000C274: 0AD00968
	v_mul_f32_e32 v105, v105, v5                               // 00000000C278: 0AD20B69
	v_mul_f32_e32 v106, v106, v6                               // 00000000C27C: 0AD40D6A
	v_mul_f32_e32 v107, v107, v7                               // 00000000C280: 0AD60F6B
	v_mul_f32_e32 v104, v104, v200                             // 00000000C284: 0AD19168
	v_mul_f32_e32 v105, v105, v201                             // 00000000C288: 0AD39369
	v_mul_f32_e32 v106, v106, v202                             // 00000000C28C: 0AD5956A
	v_mul_f32_e32 v107, v107, v203                             // 00000000C290: 0AD7976B
	v_mul_f32_e64 v4, -v108, s6                                // 00000000C294: D1050004 20000D6C
	v_mul_f32_e64 v5, -v109, s6                                // 00000000C29C: D1050005 20000D6D
	v_mul_f32_e64 v6, -v110, s6                                // 00000000C2A4: D1050006 20000D6E
	v_mul_f32_e64 v7, -v111, s6                                // 00000000C2AC: D1050007 20000D6F
	v_exp_f32_e32 v4, v4                                       // 00000000C2B4: 7E084104
	v_exp_f32_e32 v5, v5                                       // 00000000C2B8: 7E0A4105
	v_exp_f32_e32 v6, v6                                       // 00000000C2BC: 7E0C4106
	v_exp_f32_e32 v7, v7                                       // 00000000C2C0: 7E0E4107
	v_add_f32_e64 v4, v4, 1.0                                  // 00000000C2C4: D1010004 0001E504
	v_add_f32_e64 v5, v5, 1.0                                  // 00000000C2CC: D1010005 0001E505
	v_add_f32_e64 v6, v6, 1.0                                  // 00000000C2D4: D1010006 0001E506
	v_add_f32_e64 v7, v7, 1.0                                  // 00000000C2DC: D1010007 0001E507
	v_rcp_f32_e32 v4, v4                                       // 00000000C2E4: 7E084504
	v_rcp_f32_e32 v5, v5                                       // 00000000C2E8: 7E0A4505
	v_rcp_f32_e32 v6, v6                                       // 00000000C2EC: 7E0C4506
	v_rcp_f32_e32 v7, v7                                       // 00000000C2F0: 7E0E4507
	v_mul_f32_e32 v108, v108, v4                               // 00000000C2F4: 0AD8096C
	v_mul_f32_e32 v109, v109, v5                               // 00000000C2F8: 0ADA0B6D
	v_mul_f32_e32 v110, v110, v6                               // 00000000C2FC: 0ADC0D6E
	v_mul_f32_e32 v111, v111, v7                               // 00000000C300: 0ADE0F6F
	v_mul_f32_e32 v108, v108, v204                             // 00000000C304: 0AD9996C
	v_mul_f32_e32 v109, v109, v205                             // 00000000C308: 0ADB9B6D
	v_mul_f32_e32 v110, v110, v206                             // 00000000C30C: 0ADD9D6E
	v_mul_f32_e32 v111, v111, v207                             // 00000000C310: 0ADF9F6F
	v_mul_f32_e64 v4, -v112, s6                                // 00000000C314: D1050004 20000D70
	v_mul_f32_e64 v5, -v113, s6                                // 00000000C31C: D1050005 20000D71
	v_mul_f32_e64 v6, -v114, s6                                // 00000000C324: D1050006 20000D72
	v_mul_f32_e64 v7, -v115, s6                                // 00000000C32C: D1050007 20000D73
	v_exp_f32_e32 v4, v4                                       // 00000000C334: 7E084104
	v_exp_f32_e32 v5, v5                                       // 00000000C338: 7E0A4105
	v_exp_f32_e32 v6, v6                                       // 00000000C33C: 7E0C4106
	v_exp_f32_e32 v7, v7                                       // 00000000C340: 7E0E4107
	v_add_f32_e64 v4, v4, 1.0                                  // 00000000C344: D1010004 0001E504
	v_add_f32_e64 v5, v5, 1.0                                  // 00000000C34C: D1010005 0001E505
	v_add_f32_e64 v6, v6, 1.0                                  // 00000000C354: D1010006 0001E506
	v_add_f32_e64 v7, v7, 1.0                                  // 00000000C35C: D1010007 0001E507
	v_rcp_f32_e32 v4, v4                                       // 00000000C364: 7E084504
	v_rcp_f32_e32 v5, v5                                       // 00000000C368: 7E0A4505
	v_rcp_f32_e32 v6, v6                                       // 00000000C36C: 7E0C4506
	v_rcp_f32_e32 v7, v7                                       // 00000000C370: 7E0E4507
	v_mul_f32_e32 v112, v112, v4                               // 00000000C374: 0AE00970
	v_mul_f32_e32 v113, v113, v5                               // 00000000C378: 0AE20B71
	v_mul_f32_e32 v114, v114, v6                               // 00000000C37C: 0AE40D72
	v_mul_f32_e32 v115, v115, v7                               // 00000000C380: 0AE60F73
	v_mul_f32_e32 v112, v112, v208                             // 00000000C384: 0AE1A170
	v_mul_f32_e32 v113, v113, v209                             // 00000000C388: 0AE3A371
	v_mul_f32_e32 v114, v114, v210                             // 00000000C38C: 0AE5A572
	v_mul_f32_e32 v115, v115, v211                             // 00000000C390: 0AE7A773
	v_mul_f32_e64 v4, -v116, s6                                // 00000000C394: D1050004 20000D74
	v_mul_f32_e64 v5, -v117, s6                                // 00000000C39C: D1050005 20000D75
	v_mul_f32_e64 v6, -v118, s6                                // 00000000C3A4: D1050006 20000D76
	v_mul_f32_e64 v7, -v119, s6                                // 00000000C3AC: D1050007 20000D77
	v_exp_f32_e32 v4, v4                                       // 00000000C3B4: 7E084104
	v_exp_f32_e32 v5, v5                                       // 00000000C3B8: 7E0A4105
	v_exp_f32_e32 v6, v6                                       // 00000000C3BC: 7E0C4106
	v_exp_f32_e32 v7, v7                                       // 00000000C3C0: 7E0E4107
	v_add_f32_e64 v4, v4, 1.0                                  // 00000000C3C4: D1010004 0001E504
	v_add_f32_e64 v5, v5, 1.0                                  // 00000000C3CC: D1010005 0001E505
	v_add_f32_e64 v6, v6, 1.0                                  // 00000000C3D4: D1010006 0001E506
	v_add_f32_e64 v7, v7, 1.0                                  // 00000000C3DC: D1010007 0001E507
	v_rcp_f32_e32 v4, v4                                       // 00000000C3E4: 7E084504
	v_rcp_f32_e32 v5, v5                                       // 00000000C3E8: 7E0A4505
	v_rcp_f32_e32 v6, v6                                       // 00000000C3EC: 7E0C4506
	v_rcp_f32_e32 v7, v7                                       // 00000000C3F0: 7E0E4507
	v_mul_f32_e32 v116, v116, v4                               // 00000000C3F4: 0AE80974
	v_mul_f32_e32 v117, v117, v5                               // 00000000C3F8: 0AEA0B75
	v_mul_f32_e32 v118, v118, v6                               // 00000000C3FC: 0AEC0D76
	v_mul_f32_e32 v119, v119, v7                               // 00000000C400: 0AEE0F77
	v_mul_f32_e32 v116, v116, v212                             // 00000000C404: 0AE9A974
	v_mul_f32_e32 v117, v117, v213                             // 00000000C408: 0AEBAB75
	v_mul_f32_e32 v118, v118, v214                             // 00000000C40C: 0AEDAD76
	v_mul_f32_e32 v119, v119, v215                             // 00000000C410: 0AEFAF77
	v_mul_f32_e64 v4, -v120, s6                                // 00000000C414: D1050004 20000D78
	v_mul_f32_e64 v5, -v121, s6                                // 00000000C41C: D1050005 20000D79
	v_mul_f32_e64 v6, -v122, s6                                // 00000000C424: D1050006 20000D7A
	v_mul_f32_e64 v7, -v123, s6                                // 00000000C42C: D1050007 20000D7B
	v_exp_f32_e32 v4, v4                                       // 00000000C434: 7E084104
	v_exp_f32_e32 v5, v5                                       // 00000000C438: 7E0A4105
	v_exp_f32_e32 v6, v6                                       // 00000000C43C: 7E0C4106
	v_exp_f32_e32 v7, v7                                       // 00000000C440: 7E0E4107
	v_add_f32_e64 v4, v4, 1.0                                  // 00000000C444: D1010004 0001E504
	v_add_f32_e64 v5, v5, 1.0                                  // 00000000C44C: D1010005 0001E505
	v_add_f32_e64 v6, v6, 1.0                                  // 00000000C454: D1010006 0001E506
	v_add_f32_e64 v7, v7, 1.0                                  // 00000000C45C: D1010007 0001E507
	v_rcp_f32_e32 v4, v4                                       // 00000000C464: 7E084504
	v_rcp_f32_e32 v5, v5                                       // 00000000C468: 7E0A4505
	v_rcp_f32_e32 v6, v6                                       // 00000000C46C: 7E0C4506
	v_rcp_f32_e32 v7, v7                                       // 00000000C470: 7E0E4507
	v_mul_f32_e32 v120, v120, v4                               // 00000000C474: 0AF00978
	v_mul_f32_e32 v121, v121, v5                               // 00000000C478: 0AF20B79
	v_mul_f32_e32 v122, v122, v6                               // 00000000C47C: 0AF40D7A
	v_mul_f32_e32 v123, v123, v7                               // 00000000C480: 0AF60F7B
	v_mul_f32_e32 v120, v120, v216                             // 00000000C484: 0AF1B178
	v_mul_f32_e32 v121, v121, v217                             // 00000000C488: 0AF3B379
	v_mul_f32_e32 v122, v122, v218                             // 00000000C48C: 0AF5B57A
	v_mul_f32_e32 v123, v123, v219                             // 00000000C490: 0AF7B77B
	v_mul_f32_e64 v4, -v124, s6                                // 00000000C494: D1050004 20000D7C
	v_mul_f32_e64 v5, -v125, s6                                // 00000000C49C: D1050005 20000D7D
	v_mul_f32_e64 v6, -v126, s6                                // 00000000C4A4: D1050006 20000D7E
	v_mul_f32_e64 v7, -v127, s6                                // 00000000C4AC: D1050007 20000D7F
	v_exp_f32_e32 v4, v4                                       // 00000000C4B4: 7E084104
	v_exp_f32_e32 v5, v5                                       // 00000000C4B8: 7E0A4105
	v_exp_f32_e32 v6, v6                                       // 00000000C4BC: 7E0C4106
	v_exp_f32_e32 v7, v7                                       // 00000000C4C0: 7E0E4107
	v_add_f32_e64 v4, v4, 1.0                                  // 00000000C4C4: D1010004 0001E504
	v_add_f32_e64 v5, v5, 1.0                                  // 00000000C4CC: D1010005 0001E505
	v_add_f32_e64 v6, v6, 1.0                                  // 00000000C4D4: D1010006 0001E506
	v_add_f32_e64 v7, v7, 1.0                                  // 00000000C4DC: D1010007 0001E507
	v_rcp_f32_e32 v4, v4                                       // 00000000C4E4: 7E084504
	v_rcp_f32_e32 v5, v5                                       // 00000000C4E8: 7E0A4505
	v_rcp_f32_e32 v6, v6                                       // 00000000C4EC: 7E0C4506
	v_rcp_f32_e32 v7, v7                                       // 00000000C4F0: 7E0E4507
	v_mul_f32_e32 v124, v124, v4                               // 00000000C4F4: 0AF8097C
	v_mul_f32_e32 v125, v125, v5                               // 00000000C4F8: 0AFA0B7D
	v_mul_f32_e32 v126, v126, v6                               // 00000000C4FC: 0AFC0D7E
	v_mul_f32_e32 v127, v127, v7                               // 00000000C500: 0AFE0F7F
	v_mul_f32_e32 v124, v124, v220                             // 00000000C504: 0AF9B97C
	v_mul_f32_e32 v125, v125, v221                             // 00000000C508: 0AFBBB7D
	v_mul_f32_e32 v126, v126, v222                             // 00000000C50C: 0AFDBD7E
	v_mul_f32_e32 v127, v127, v223                             // 00000000C510: 0AFFBF7F
	v_mul_f32_e64 v4, -v128, s6                                // 00000000C514: D1050004 20000D80
	v_mul_f32_e64 v5, -v129, s6                                // 00000000C51C: D1050005 20000D81
	v_mul_f32_e64 v6, -v130, s6                                // 00000000C524: D1050006 20000D82
	v_mul_f32_e64 v7, -v131, s6                                // 00000000C52C: D1050007 20000D83
	v_exp_f32_e32 v4, v4                                       // 00000000C534: 7E084104
	v_exp_f32_e32 v5, v5                                       // 00000000C538: 7E0A4105
	v_exp_f32_e32 v6, v6                                       // 00000000C53C: 7E0C4106
	v_exp_f32_e32 v7, v7                                       // 00000000C540: 7E0E4107
	v_add_f32_e64 v4, v4, 1.0                                  // 00000000C544: D1010004 0001E504
	v_add_f32_e64 v5, v5, 1.0                                  // 00000000C54C: D1010005 0001E505
	v_add_f32_e64 v6, v6, 1.0                                  // 00000000C554: D1010006 0001E506
	v_add_f32_e64 v7, v7, 1.0                                  // 00000000C55C: D1010007 0001E507
	v_rcp_f32_e32 v4, v4                                       // 00000000C564: 7E084504
	v_rcp_f32_e32 v5, v5                                       // 00000000C568: 7E0A4505
	v_rcp_f32_e32 v6, v6                                       // 00000000C56C: 7E0C4506
	v_rcp_f32_e32 v7, v7                                       // 00000000C570: 7E0E4507
	v_mul_f32_e32 v128, v128, v4                               // 00000000C574: 0B000980
	v_mul_f32_e32 v129, v129, v5                               // 00000000C578: 0B020B81
	v_mul_f32_e32 v130, v130, v6                               // 00000000C57C: 0B040D82
	v_mul_f32_e32 v131, v131, v7                               // 00000000C580: 0B060F83
	v_mul_f32_e32 v128, v128, v224                             // 00000000C584: 0B01C180
	v_mul_f32_e32 v129, v129, v225                             // 00000000C588: 0B03C381
	v_mul_f32_e32 v130, v130, v226                             // 00000000C58C: 0B05C582
	v_mul_f32_e32 v131, v131, v227                             // 00000000C590: 0B07C783
	v_mul_f32_e64 v4, -v132, s6                                // 00000000C594: D1050004 20000D84
	v_mul_f32_e64 v5, -v133, s6                                // 00000000C59C: D1050005 20000D85
	v_mul_f32_e64 v6, -v134, s6                                // 00000000C5A4: D1050006 20000D86
	v_mul_f32_e64 v7, -v135, s6                                // 00000000C5AC: D1050007 20000D87
	v_exp_f32_e32 v4, v4                                       // 00000000C5B4: 7E084104
	v_exp_f32_e32 v5, v5                                       // 00000000C5B8: 7E0A4105
	v_exp_f32_e32 v6, v6                                       // 00000000C5BC: 7E0C4106
	v_exp_f32_e32 v7, v7                                       // 00000000C5C0: 7E0E4107
	v_add_f32_e64 v4, v4, 1.0                                  // 00000000C5C4: D1010004 0001E504
	v_add_f32_e64 v5, v5, 1.0                                  // 00000000C5CC: D1010005 0001E505
	v_add_f32_e64 v6, v6, 1.0                                  // 00000000C5D4: D1010006 0001E506
	v_add_f32_e64 v7, v7, 1.0                                  // 00000000C5DC: D1010007 0001E507
	v_rcp_f32_e32 v4, v4                                       // 00000000C5E4: 7E084504
	v_rcp_f32_e32 v5, v5                                       // 00000000C5E8: 7E0A4505
	v_rcp_f32_e32 v6, v6                                       // 00000000C5EC: 7E0C4506
	v_rcp_f32_e32 v7, v7                                       // 00000000C5F0: 7E0E4507
	v_mul_f32_e32 v132, v132, v4                               // 00000000C5F4: 0B080984
	v_mul_f32_e32 v133, v133, v5                               // 00000000C5F8: 0B0A0B85
	v_mul_f32_e32 v134, v134, v6                               // 00000000C5FC: 0B0C0D86
	v_mul_f32_e32 v135, v135, v7                               // 00000000C600: 0B0E0F87
	v_mul_f32_e32 v132, v132, v228                             // 00000000C604: 0B09C984
	v_mul_f32_e32 v133, v133, v229                             // 00000000C608: 0B0BCB85
	v_mul_f32_e32 v134, v134, v230                             // 00000000C60C: 0B0DCD86
	v_mul_f32_e32 v135, v135, v231                             // 00000000C610: 0B0FCF87
	v_mul_f32_e64 v4, -v136, s6                                // 00000000C614: D1050004 20000D88
	v_mul_f32_e64 v5, -v137, s6                                // 00000000C61C: D1050005 20000D89
	v_mul_f32_e64 v6, -v138, s6                                // 00000000C624: D1050006 20000D8A
	v_mul_f32_e64 v7, -v139, s6                                // 00000000C62C: D1050007 20000D8B
	v_exp_f32_e32 v4, v4                                       // 00000000C634: 7E084104
	v_exp_f32_e32 v5, v5                                       // 00000000C638: 7E0A4105
	v_exp_f32_e32 v6, v6                                       // 00000000C63C: 7E0C4106
	v_exp_f32_e32 v7, v7                                       // 00000000C640: 7E0E4107
	v_add_f32_e64 v4, v4, 1.0                                  // 00000000C644: D1010004 0001E504
	v_add_f32_e64 v5, v5, 1.0                                  // 00000000C64C: D1010005 0001E505
	v_add_f32_e64 v6, v6, 1.0                                  // 00000000C654: D1010006 0001E506
	v_add_f32_e64 v7, v7, 1.0                                  // 00000000C65C: D1010007 0001E507
	v_rcp_f32_e32 v4, v4                                       // 00000000C664: 7E084504
	v_rcp_f32_e32 v5, v5                                       // 00000000C668: 7E0A4505
	v_rcp_f32_e32 v6, v6                                       // 00000000C66C: 7E0C4506
	v_rcp_f32_e32 v7, v7                                       // 00000000C670: 7E0E4507
	v_mul_f32_e32 v136, v136, v4                               // 00000000C674: 0B100988
	v_mul_f32_e32 v137, v137, v5                               // 00000000C678: 0B120B89
	v_mul_f32_e32 v138, v138, v6                               // 00000000C67C: 0B140D8A
	v_mul_f32_e32 v139, v139, v7                               // 00000000C680: 0B160F8B
	v_mul_f32_e32 v136, v136, v232                             // 00000000C684: 0B11D188
	v_mul_f32_e32 v137, v137, v233                             // 00000000C688: 0B13D389
	v_mul_f32_e32 v138, v138, v234                             // 00000000C68C: 0B15D58A
	v_mul_f32_e32 v139, v139, v235                             // 00000000C690: 0B17D78B
	v_mul_f32_e64 v4, -v140, s6                                // 00000000C694: D1050004 20000D8C
	v_mul_f32_e64 v5, -v141, s6                                // 00000000C69C: D1050005 20000D8D
	v_mul_f32_e64 v6, -v142, s6                                // 00000000C6A4: D1050006 20000D8E
	v_mul_f32_e64 v7, -v143, s6                                // 00000000C6AC: D1050007 20000D8F
	v_exp_f32_e32 v4, v4                                       // 00000000C6B4: 7E084104
	v_exp_f32_e32 v5, v5                                       // 00000000C6B8: 7E0A4105
	v_exp_f32_e32 v6, v6                                       // 00000000C6BC: 7E0C4106
	v_exp_f32_e32 v7, v7                                       // 00000000C6C0: 7E0E4107
	v_add_f32_e64 v4, v4, 1.0                                  // 00000000C6C4: D1010004 0001E504
	v_add_f32_e64 v5, v5, 1.0                                  // 00000000C6CC: D1010005 0001E505
	v_add_f32_e64 v6, v6, 1.0                                  // 00000000C6D4: D1010006 0001E506
	v_add_f32_e64 v7, v7, 1.0                                  // 00000000C6DC: D1010007 0001E507
	v_rcp_f32_e32 v4, v4                                       // 00000000C6E4: 7E084504
	v_rcp_f32_e32 v5, v5                                       // 00000000C6E8: 7E0A4505
	v_rcp_f32_e32 v6, v6                                       // 00000000C6EC: 7E0C4506
	v_rcp_f32_e32 v7, v7                                       // 00000000C6F0: 7E0E4507
	v_mul_f32_e32 v140, v140, v4                               // 00000000C6F4: 0B18098C
	v_mul_f32_e32 v141, v141, v5                               // 00000000C6F8: 0B1A0B8D
	v_mul_f32_e32 v142, v142, v6                               // 00000000C6FC: 0B1C0D8E
	v_mul_f32_e32 v143, v143, v7                               // 00000000C700: 0B1E0F8F
	v_mul_f32_e32 v140, v140, v236                             // 00000000C704: 0B19D98C
	v_mul_f32_e32 v141, v141, v237                             // 00000000C708: 0B1BDB8D
	v_mul_f32_e32 v142, v142, v238                             // 00000000C70C: 0B1DDD8E
	v_mul_f32_e32 v143, v143, v239                             // 00000000C710: 0B1FDF8F
	v_mul_f32_e64 v4, -v144, s6                                // 00000000C714: D1050004 20000D90
	v_mul_f32_e64 v5, -v145, s6                                // 00000000C71C: D1050005 20000D91
	v_mul_f32_e64 v6, -v146, s6                                // 00000000C724: D1050006 20000D92
	v_mul_f32_e64 v7, -v147, s6                                // 00000000C72C: D1050007 20000D93
	v_exp_f32_e32 v4, v4                                       // 00000000C734: 7E084104
	v_exp_f32_e32 v5, v5                                       // 00000000C738: 7E0A4105
	v_exp_f32_e32 v6, v6                                       // 00000000C73C: 7E0C4106
	v_exp_f32_e32 v7, v7                                       // 00000000C740: 7E0E4107
	v_add_f32_e64 v4, v4, 1.0                                  // 00000000C744: D1010004 0001E504
	v_add_f32_e64 v5, v5, 1.0                                  // 00000000C74C: D1010005 0001E505
	v_add_f32_e64 v6, v6, 1.0                                  // 00000000C754: D1010006 0001E506
	v_add_f32_e64 v7, v7, 1.0                                  // 00000000C75C: D1010007 0001E507
	v_rcp_f32_e32 v4, v4                                       // 00000000C764: 7E084504
	v_rcp_f32_e32 v5, v5                                       // 00000000C768: 7E0A4505
	v_rcp_f32_e32 v6, v6                                       // 00000000C76C: 7E0C4506
	v_rcp_f32_e32 v7, v7                                       // 00000000C770: 7E0E4507
	v_mul_f32_e32 v144, v144, v4                               // 00000000C774: 0B200990
	v_mul_f32_e32 v145, v145, v5                               // 00000000C778: 0B220B91
	v_mul_f32_e32 v146, v146, v6                               // 00000000C77C: 0B240D92
	v_mul_f32_e32 v147, v147, v7                               // 00000000C780: 0B260F93
	v_mul_f32_e32 v144, v144, v240                             // 00000000C784: 0B21E190
	v_mul_f32_e32 v145, v145, v241                             // 00000000C788: 0B23E391
	v_mul_f32_e32 v146, v146, v242                             // 00000000C78C: 0B25E592
	v_mul_f32_e32 v147, v147, v243                             // 00000000C790: 0B27E793
	v_mul_f32_e64 v4, -v148, s6                                // 00000000C794: D1050004 20000D94
	v_mul_f32_e64 v5, -v149, s6                                // 00000000C79C: D1050005 20000D95
	v_mul_f32_e64 v6, -v150, s6                                // 00000000C7A4: D1050006 20000D96
	v_mul_f32_e64 v7, -v151, s6                                // 00000000C7AC: D1050007 20000D97
	v_exp_f32_e32 v4, v4                                       // 00000000C7B4: 7E084104
	v_exp_f32_e32 v5, v5                                       // 00000000C7B8: 7E0A4105
	v_exp_f32_e32 v6, v6                                       // 00000000C7BC: 7E0C4106
	v_exp_f32_e32 v7, v7                                       // 00000000C7C0: 7E0E4107
	v_add_f32_e64 v4, v4, 1.0                                  // 00000000C7C4: D1010004 0001E504
	v_add_f32_e64 v5, v5, 1.0                                  // 00000000C7CC: D1010005 0001E505
	v_add_f32_e64 v6, v6, 1.0                                  // 00000000C7D4: D1010006 0001E506
	v_add_f32_e64 v7, v7, 1.0                                  // 00000000C7DC: D1010007 0001E507
	v_rcp_f32_e32 v4, v4                                       // 00000000C7E4: 7E084504
	v_rcp_f32_e32 v5, v5                                       // 00000000C7E8: 7E0A4505
	v_rcp_f32_e32 v6, v6                                       // 00000000C7EC: 7E0C4506
	v_rcp_f32_e32 v7, v7                                       // 00000000C7F0: 7E0E4507
	v_mul_f32_e32 v148, v148, v4                               // 00000000C7F4: 0B280994
	v_mul_f32_e32 v149, v149, v5                               // 00000000C7F8: 0B2A0B95
	v_mul_f32_e32 v150, v150, v6                               // 00000000C7FC: 0B2C0D96
	v_mul_f32_e32 v151, v151, v7                               // 00000000C800: 0B2E0F97
	v_mul_f32_e32 v148, v148, v244                             // 00000000C804: 0B29E994
	v_mul_f32_e32 v149, v149, v245                             // 00000000C808: 0B2BEB95
	v_mul_f32_e32 v150, v150, v246                             // 00000000C80C: 0B2DED96
	v_mul_f32_e32 v151, v151, v247                             // 00000000C810: 0B2FEF97

000000000000c814 <label_2788>:
	v_cmp_u_f32_e64 s[46:47], v56, v56                         // 00000000C814: D048002E 00027138
	v_add3_u32 v16, v56, v19, 1                                // 00000000C81C: D1FF0010 02062738
	v_cndmask_b32_e64 v4, v16, v18, s[46:47]                   // 00000000C824: D1000004 00BA2510
	v_cmp_u_f32_e64 s[46:47], v57, v57                         // 00000000C82C: D048002E 00027339
	v_add3_u32 v16, v57, v19, 1                                // 00000000C834: D1FF0010 02062739
	v_cndmask_b32_e64 v5, v16, v18, s[46:47]                   // 00000000C83C: D1000005 00BA2510
	v_perm_b32 v56, v5, v4, s52                                // 00000000C844: D1ED0038 00D20905
	v_cmp_u_f32_e64 s[46:47], v58, v58                         // 00000000C84C: D048002E 0002753A
	v_add3_u32 v16, v58, v19, 1                                // 00000000C854: D1FF0010 0206273A
	v_cndmask_b32_e64 v4, v16, v18, s[46:47]                   // 00000000C85C: D1000004 00BA2510
	v_cmp_u_f32_e64 s[46:47], v59, v59                         // 00000000C864: D048002E 0002773B
	v_add3_u32 v16, v59, v19, 1                                // 00000000C86C: D1FF0010 0206273B
	v_cndmask_b32_e64 v5, v16, v18, s[46:47]                   // 00000000C874: D1000005 00BA2510
	v_perm_b32 v57, v5, v4, s52                                // 00000000C87C: D1ED0039 00D20905
	v_cmp_u_f32_e64 s[46:47], v60, v60                         // 00000000C884: D048002E 0002793C
	v_add3_u32 v16, v60, v19, 1                                // 00000000C88C: D1FF0010 0206273C
	v_cndmask_b32_e64 v4, v16, v18, s[46:47]                   // 00000000C894: D1000004 00BA2510
	v_cmp_u_f32_e64 s[46:47], v61, v61                         // 00000000C89C: D048002E 00027B3D
	v_add3_u32 v16, v61, v19, 1                                // 00000000C8A4: D1FF0010 0206273D
	v_cndmask_b32_e64 v5, v16, v18, s[46:47]                   // 00000000C8AC: D1000005 00BA2510
	v_perm_b32 v58, v5, v4, s52                                // 00000000C8B4: D1ED003A 00D20905
	v_cmp_u_f32_e64 s[46:47], v62, v62                         // 00000000C8BC: D048002E 00027D3E
	v_add3_u32 v16, v62, v19, 1                                // 00000000C8C4: D1FF0010 0206273E
	v_cndmask_b32_e64 v4, v16, v18, s[46:47]                   // 00000000C8CC: D1000004 00BA2510
	v_cmp_u_f32_e64 s[46:47], v63, v63                         // 00000000C8D4: D048002E 00027F3F
	v_add3_u32 v16, v63, v19, 1                                // 00000000C8DC: D1FF0010 0206273F
	v_cndmask_b32_e64 v5, v16, v18, s[46:47]                   // 00000000C8E4: D1000005 00BA2510
	v_perm_b32 v59, v5, v4, s52                                // 00000000C8EC: D1ED003B 00D20905
	v_cmp_u_f32_e64 s[46:47], v64, v64                         // 00000000C8F4: D048002E 00028140
	v_add3_u32 v16, v64, v19, 1                                // 00000000C8FC: D1FF0010 02062740
	v_cndmask_b32_e64 v4, v16, v18, s[46:47]                   // 00000000C904: D1000004 00BA2510
	v_cmp_u_f32_e64 s[46:47], v65, v65                         // 00000000C90C: D048002E 00028341
	v_add3_u32 v16, v65, v19, 1                                // 00000000C914: D1FF0010 02062741
	v_cndmask_b32_e64 v5, v16, v18, s[46:47]                   // 00000000C91C: D1000005 00BA2510
	v_perm_b32 v60, v5, v4, s52                                // 00000000C924: D1ED003C 00D20905
	v_cmp_u_f32_e64 s[46:47], v66, v66                         // 00000000C92C: D048002E 00028542
	v_add3_u32 v16, v66, v19, 1                                // 00000000C934: D1FF0010 02062742
	v_cndmask_b32_e64 v4, v16, v18, s[46:47]                   // 00000000C93C: D1000004 00BA2510
	v_cmp_u_f32_e64 s[46:47], v67, v67                         // 00000000C944: D048002E 00028743
	v_add3_u32 v16, v67, v19, 1                                // 00000000C94C: D1FF0010 02062743
	v_cndmask_b32_e64 v5, v16, v18, s[46:47]                   // 00000000C954: D1000005 00BA2510
	v_perm_b32 v61, v5, v4, s52                                // 00000000C95C: D1ED003D 00D20905
	v_cmp_u_f32_e64 s[46:47], v68, v68                         // 00000000C964: D048002E 00028944
	v_add3_u32 v16, v68, v19, 1                                // 00000000C96C: D1FF0010 02062744
	v_cndmask_b32_e64 v4, v16, v18, s[46:47]                   // 00000000C974: D1000004 00BA2510
	v_cmp_u_f32_e64 s[46:47], v69, v69                         // 00000000C97C: D048002E 00028B45
	v_add3_u32 v16, v69, v19, 1                                // 00000000C984: D1FF0010 02062745
	v_cndmask_b32_e64 v5, v16, v18, s[46:47]                   // 00000000C98C: D1000005 00BA2510
	v_perm_b32 v62, v5, v4, s52                                // 00000000C994: D1ED003E 00D20905
	v_cmp_u_f32_e64 s[46:47], v70, v70                         // 00000000C99C: D048002E 00028D46
	v_add3_u32 v16, v70, v19, 1                                // 00000000C9A4: D1FF0010 02062746
	v_cndmask_b32_e64 v4, v16, v18, s[46:47]                   // 00000000C9AC: D1000004 00BA2510
	v_cmp_u_f32_e64 s[46:47], v71, v71                         // 00000000C9B4: D048002E 00028F47
	v_add3_u32 v16, v71, v19, 1                                // 00000000C9BC: D1FF0010 02062747
	v_cndmask_b32_e64 v5, v16, v18, s[46:47]                   // 00000000C9C4: D1000005 00BA2510
	v_perm_b32 v63, v5, v4, s52                                // 00000000C9CC: D1ED003F 00D20905
	v_cmp_u_f32_e64 s[46:47], v72, v72                         // 00000000C9D4: D048002E 00029148
	v_add3_u32 v16, v72, v19, 1                                // 00000000C9DC: D1FF0010 02062748
	v_cndmask_b32_e64 v4, v16, v18, s[46:47]                   // 00000000C9E4: D1000004 00BA2510
	v_cmp_u_f32_e64 s[46:47], v73, v73                         // 00000000C9EC: D048002E 00029349
	v_add3_u32 v16, v73, v19, 1                                // 00000000C9F4: D1FF0010 02062749
	v_cndmask_b32_e64 v5, v16, v18, s[46:47]                   // 00000000C9FC: D1000005 00BA2510
	v_perm_b32 v64, v5, v4, s52                                // 00000000CA04: D1ED0040 00D20905
	v_cmp_u_f32_e64 s[46:47], v74, v74                         // 00000000CA0C: D048002E 0002954A
	v_add3_u32 v16, v74, v19, 1                                // 00000000CA14: D1FF0010 0206274A
	v_cndmask_b32_e64 v4, v16, v18, s[46:47]                   // 00000000CA1C: D1000004 00BA2510
	v_cmp_u_f32_e64 s[46:47], v75, v75                         // 00000000CA24: D048002E 0002974B
	v_add3_u32 v16, v75, v19, 1                                // 00000000CA2C: D1FF0010 0206274B
	v_cndmask_b32_e64 v5, v16, v18, s[46:47]                   // 00000000CA34: D1000005 00BA2510
	v_perm_b32 v65, v5, v4, s52                                // 00000000CA3C: D1ED0041 00D20905
	v_cmp_u_f32_e64 s[46:47], v76, v76                         // 00000000CA44: D048002E 0002994C
	v_add3_u32 v16, v76, v19, 1                                // 00000000CA4C: D1FF0010 0206274C
	v_cndmask_b32_e64 v4, v16, v18, s[46:47]                   // 00000000CA54: D1000004 00BA2510
	v_cmp_u_f32_e64 s[46:47], v77, v77                         // 00000000CA5C: D048002E 00029B4D
	v_add3_u32 v16, v77, v19, 1                                // 00000000CA64: D1FF0010 0206274D
	v_cndmask_b32_e64 v5, v16, v18, s[46:47]                   // 00000000CA6C: D1000005 00BA2510
	v_perm_b32 v66, v5, v4, s52                                // 00000000CA74: D1ED0042 00D20905
	v_cmp_u_f32_e64 s[46:47], v78, v78                         // 00000000CA7C: D048002E 00029D4E
	v_add3_u32 v16, v78, v19, 1                                // 00000000CA84: D1FF0010 0206274E
	v_cndmask_b32_e64 v4, v16, v18, s[46:47]                   // 00000000CA8C: D1000004 00BA2510
	v_cmp_u_f32_e64 s[46:47], v79, v79                         // 00000000CA94: D048002E 00029F4F
	v_add3_u32 v16, v79, v19, 1                                // 00000000CA9C: D1FF0010 0206274F
	v_cndmask_b32_e64 v5, v16, v18, s[46:47]                   // 00000000CAA4: D1000005 00BA2510
	v_perm_b32 v67, v5, v4, s52                                // 00000000CAAC: D1ED0043 00D20905
	v_cmp_u_f32_e64 s[46:47], v80, v80                         // 00000000CAB4: D048002E 0002A150
	v_add3_u32 v16, v80, v19, 1                                // 00000000CABC: D1FF0010 02062750
	v_cndmask_b32_e64 v4, v16, v18, s[46:47]                   // 00000000CAC4: D1000004 00BA2510
	v_cmp_u_f32_e64 s[46:47], v81, v81                         // 00000000CACC: D048002E 0002A351
	v_add3_u32 v16, v81, v19, 1                                // 00000000CAD4: D1FF0010 02062751
	v_cndmask_b32_e64 v5, v16, v18, s[46:47]                   // 00000000CADC: D1000005 00BA2510
	v_perm_b32 v68, v5, v4, s52                                // 00000000CAE4: D1ED0044 00D20905
	v_cmp_u_f32_e64 s[46:47], v82, v82                         // 00000000CAEC: D048002E 0002A552
	v_add3_u32 v16, v82, v19, 1                                // 00000000CAF4: D1FF0010 02062752
	v_cndmask_b32_e64 v4, v16, v18, s[46:47]                   // 00000000CAFC: D1000004 00BA2510
	v_cmp_u_f32_e64 s[46:47], v83, v83                         // 00000000CB04: D048002E 0002A753
	v_add3_u32 v16, v83, v19, 1                                // 00000000CB0C: D1FF0010 02062753
	v_cndmask_b32_e64 v5, v16, v18, s[46:47]                   // 00000000CB14: D1000005 00BA2510
	v_perm_b32 v69, v5, v4, s52                                // 00000000CB1C: D1ED0045 00D20905
	v_cmp_u_f32_e64 s[46:47], v84, v84                         // 00000000CB24: D048002E 0002A954
	v_add3_u32 v16, v84, v19, 1                                // 00000000CB2C: D1FF0010 02062754
	v_cndmask_b32_e64 v4, v16, v18, s[46:47]                   // 00000000CB34: D1000004 00BA2510
	v_cmp_u_f32_e64 s[46:47], v85, v85                         // 00000000CB3C: D048002E 0002AB55
	v_add3_u32 v16, v85, v19, 1                                // 00000000CB44: D1FF0010 02062755
	v_cndmask_b32_e64 v5, v16, v18, s[46:47]                   // 00000000CB4C: D1000005 00BA2510
	v_perm_b32 v70, v5, v4, s52                                // 00000000CB54: D1ED0046 00D20905
	v_cmp_u_f32_e64 s[46:47], v86, v86                         // 00000000CB5C: D048002E 0002AD56
	v_add3_u32 v16, v86, v19, 1                                // 00000000CB64: D1FF0010 02062756
	v_cndmask_b32_e64 v4, v16, v18, s[46:47]                   // 00000000CB6C: D1000004 00BA2510
	v_cmp_u_f32_e64 s[46:47], v87, v87                         // 00000000CB74: D048002E 0002AF57
	v_add3_u32 v16, v87, v19, 1                                // 00000000CB7C: D1FF0010 02062757
	v_cndmask_b32_e64 v5, v16, v18, s[46:47]                   // 00000000CB84: D1000005 00BA2510
	v_perm_b32 v71, v5, v4, s52                                // 00000000CB8C: D1ED0047 00D20905
	v_cmp_u_f32_e64 s[46:47], v88, v88                         // 00000000CB94: D048002E 0002B158
	v_add3_u32 v16, v88, v19, 1                                // 00000000CB9C: D1FF0010 02062758
	v_cndmask_b32_e64 v4, v16, v18, s[46:47]                   // 00000000CBA4: D1000004 00BA2510
	v_cmp_u_f32_e64 s[46:47], v89, v89                         // 00000000CBAC: D048002E 0002B359
	v_add3_u32 v16, v89, v19, 1                                // 00000000CBB4: D1FF0010 02062759
	v_cndmask_b32_e64 v5, v16, v18, s[46:47]                   // 00000000CBBC: D1000005 00BA2510
	v_perm_b32 v72, v5, v4, s52                                // 00000000CBC4: D1ED0048 00D20905
	v_cmp_u_f32_e64 s[46:47], v90, v90                         // 00000000CBCC: D048002E 0002B55A
	v_add3_u32 v16, v90, v19, 1                                // 00000000CBD4: D1FF0010 0206275A
	v_cndmask_b32_e64 v4, v16, v18, s[46:47]                   // 00000000CBDC: D1000004 00BA2510
	v_cmp_u_f32_e64 s[46:47], v91, v91                         // 00000000CBE4: D048002E 0002B75B
	v_add3_u32 v16, v91, v19, 1                                // 00000000CBEC: D1FF0010 0206275B
	v_cndmask_b32_e64 v5, v16, v18, s[46:47]                   // 00000000CBF4: D1000005 00BA2510
	v_perm_b32 v73, v5, v4, s52                                // 00000000CBFC: D1ED0049 00D20905
	v_cmp_u_f32_e64 s[46:47], v92, v92                         // 00000000CC04: D048002E 0002B95C
	v_add3_u32 v16, v92, v19, 1                                // 00000000CC0C: D1FF0010 0206275C
	v_cndmask_b32_e64 v4, v16, v18, s[46:47]                   // 00000000CC14: D1000004 00BA2510
	v_cmp_u_f32_e64 s[46:47], v93, v93                         // 00000000CC1C: D048002E 0002BB5D
	v_add3_u32 v16, v93, v19, 1                                // 00000000CC24: D1FF0010 0206275D
	v_cndmask_b32_e64 v5, v16, v18, s[46:47]                   // 00000000CC2C: D1000005 00BA2510
	v_perm_b32 v74, v5, v4, s52                                // 00000000CC34: D1ED004A 00D20905
	v_cmp_u_f32_e64 s[46:47], v94, v94                         // 00000000CC3C: D048002E 0002BD5E
	v_add3_u32 v16, v94, v19, 1                                // 00000000CC44: D1FF0010 0206275E
	v_cndmask_b32_e64 v4, v16, v18, s[46:47]                   // 00000000CC4C: D1000004 00BA2510
	v_cmp_u_f32_e64 s[46:47], v95, v95                         // 00000000CC54: D048002E 0002BF5F
	v_add3_u32 v16, v95, v19, 1                                // 00000000CC5C: D1FF0010 0206275F
	v_cndmask_b32_e64 v5, v16, v18, s[46:47]                   // 00000000CC64: D1000005 00BA2510
	v_perm_b32 v75, v5, v4, s52                                // 00000000CC6C: D1ED004B 00D20905
	v_cmp_u_f32_e64 s[46:47], v96, v96                         // 00000000CC74: D048002E 0002C160
	v_add3_u32 v16, v96, v19, 1                                // 00000000CC7C: D1FF0010 02062760
	v_cndmask_b32_e64 v4, v16, v18, s[46:47]                   // 00000000CC84: D1000004 00BA2510
	v_cmp_u_f32_e64 s[46:47], v97, v97                         // 00000000CC8C: D048002E 0002C361
	v_add3_u32 v16, v97, v19, 1                                // 00000000CC94: D1FF0010 02062761
	v_cndmask_b32_e64 v5, v16, v18, s[46:47]                   // 00000000CC9C: D1000005 00BA2510
	v_perm_b32 v76, v5, v4, s52                                // 00000000CCA4: D1ED004C 00D20905
	v_cmp_u_f32_e64 s[46:47], v98, v98                         // 00000000CCAC: D048002E 0002C562
	v_add3_u32 v16, v98, v19, 1                                // 00000000CCB4: D1FF0010 02062762
	v_cndmask_b32_e64 v4, v16, v18, s[46:47]                   // 00000000CCBC: D1000004 00BA2510
	v_cmp_u_f32_e64 s[46:47], v99, v99                         // 00000000CCC4: D048002E 0002C763
	v_add3_u32 v16, v99, v19, 1                                // 00000000CCCC: D1FF0010 02062763
	v_cndmask_b32_e64 v5, v16, v18, s[46:47]                   // 00000000CCD4: D1000005 00BA2510
	v_perm_b32 v77, v5, v4, s52                                // 00000000CCDC: D1ED004D 00D20905
	v_cmp_u_f32_e64 s[46:47], v100, v100                       // 00000000CCE4: D048002E 0002C964
	v_add3_u32 v16, v100, v19, 1                               // 00000000CCEC: D1FF0010 02062764
	v_cndmask_b32_e64 v4, v16, v18, s[46:47]                   // 00000000CCF4: D1000004 00BA2510
	v_cmp_u_f32_e64 s[46:47], v101, v101                       // 00000000CCFC: D048002E 0002CB65
	v_add3_u32 v16, v101, v19, 1                               // 00000000CD04: D1FF0010 02062765
	v_cndmask_b32_e64 v5, v16, v18, s[46:47]                   // 00000000CD0C: D1000005 00BA2510
	v_perm_b32 v78, v5, v4, s52                                // 00000000CD14: D1ED004E 00D20905
	v_cmp_u_f32_e64 s[46:47], v102, v102                       // 00000000CD1C: D048002E 0002CD66
	v_add3_u32 v16, v102, v19, 1                               // 00000000CD24: D1FF0010 02062766
	v_cndmask_b32_e64 v4, v16, v18, s[46:47]                   // 00000000CD2C: D1000004 00BA2510
	v_cmp_u_f32_e64 s[46:47], v103, v103                       // 00000000CD34: D048002E 0002CF67
	v_add3_u32 v16, v103, v19, 1                               // 00000000CD3C: D1FF0010 02062767
	v_cndmask_b32_e64 v5, v16, v18, s[46:47]                   // 00000000CD44: D1000005 00BA2510
	v_perm_b32 v79, v5, v4, s52                                // 00000000CD4C: D1ED004F 00D20905
	v_cmp_u_f32_e64 s[46:47], v104, v104                       // 00000000CD54: D048002E 0002D168
	v_add3_u32 v16, v104, v19, 1                               // 00000000CD5C: D1FF0010 02062768
	v_cndmask_b32_e64 v4, v16, v18, s[46:47]                   // 00000000CD64: D1000004 00BA2510
	v_cmp_u_f32_e64 s[46:47], v105, v105                       // 00000000CD6C: D048002E 0002D369
	v_add3_u32 v16, v105, v19, 1                               // 00000000CD74: D1FF0010 02062769
	v_cndmask_b32_e64 v5, v16, v18, s[46:47]                   // 00000000CD7C: D1000005 00BA2510
	v_perm_b32 v80, v5, v4, s52                                // 00000000CD84: D1ED0050 00D20905
	v_cmp_u_f32_e64 s[46:47], v106, v106                       // 00000000CD8C: D048002E 0002D56A
	v_add3_u32 v16, v106, v19, 1                               // 00000000CD94: D1FF0010 0206276A
	v_cndmask_b32_e64 v4, v16, v18, s[46:47]                   // 00000000CD9C: D1000004 00BA2510
	v_cmp_u_f32_e64 s[46:47], v107, v107                       // 00000000CDA4: D048002E 0002D76B
	v_add3_u32 v16, v107, v19, 1                               // 00000000CDAC: D1FF0010 0206276B
	v_cndmask_b32_e64 v5, v16, v18, s[46:47]                   // 00000000CDB4: D1000005 00BA2510
	v_perm_b32 v81, v5, v4, s52                                // 00000000CDBC: D1ED0051 00D20905
	v_cmp_u_f32_e64 s[46:47], v108, v108                       // 00000000CDC4: D048002E 0002D96C
	v_add3_u32 v16, v108, v19, 1                               // 00000000CDCC: D1FF0010 0206276C
	v_cndmask_b32_e64 v4, v16, v18, s[46:47]                   // 00000000CDD4: D1000004 00BA2510
	v_cmp_u_f32_e64 s[46:47], v109, v109                       // 00000000CDDC: D048002E 0002DB6D
	v_add3_u32 v16, v109, v19, 1                               // 00000000CDE4: D1FF0010 0206276D
	v_cndmask_b32_e64 v5, v16, v18, s[46:47]                   // 00000000CDEC: D1000005 00BA2510
	v_perm_b32 v82, v5, v4, s52                                // 00000000CDF4: D1ED0052 00D20905
	v_cmp_u_f32_e64 s[46:47], v110, v110                       // 00000000CDFC: D048002E 0002DD6E
	v_add3_u32 v16, v110, v19, 1                               // 00000000CE04: D1FF0010 0206276E
	v_cndmask_b32_e64 v4, v16, v18, s[46:47]                   // 00000000CE0C: D1000004 00BA2510
	v_cmp_u_f32_e64 s[46:47], v111, v111                       // 00000000CE14: D048002E 0002DF6F
	v_add3_u32 v16, v111, v19, 1                               // 00000000CE1C: D1FF0010 0206276F
	v_cndmask_b32_e64 v5, v16, v18, s[46:47]                   // 00000000CE24: D1000005 00BA2510
	v_perm_b32 v83, v5, v4, s52                                // 00000000CE2C: D1ED0053 00D20905
	v_cmp_u_f32_e64 s[46:47], v112, v112                       // 00000000CE34: D048002E 0002E170
	v_add3_u32 v16, v112, v19, 1                               // 00000000CE3C: D1FF0010 02062770
	v_cndmask_b32_e64 v4, v16, v18, s[46:47]                   // 00000000CE44: D1000004 00BA2510
	v_cmp_u_f32_e64 s[46:47], v113, v113                       // 00000000CE4C: D048002E 0002E371
	v_add3_u32 v16, v113, v19, 1                               // 00000000CE54: D1FF0010 02062771
	v_cndmask_b32_e64 v5, v16, v18, s[46:47]                   // 00000000CE5C: D1000005 00BA2510
	v_perm_b32 v84, v5, v4, s52                                // 00000000CE64: D1ED0054 00D20905
	v_cmp_u_f32_e64 s[46:47], v114, v114                       // 00000000CE6C: D048002E 0002E572
	v_add3_u32 v16, v114, v19, 1                               // 00000000CE74: D1FF0010 02062772
	v_cndmask_b32_e64 v4, v16, v18, s[46:47]                   // 00000000CE7C: D1000004 00BA2510
	v_cmp_u_f32_e64 s[46:47], v115, v115                       // 00000000CE84: D048002E 0002E773
	v_add3_u32 v16, v115, v19, 1                               // 00000000CE8C: D1FF0010 02062773
	v_cndmask_b32_e64 v5, v16, v18, s[46:47]                   // 00000000CE94: D1000005 00BA2510
	v_perm_b32 v85, v5, v4, s52                                // 00000000CE9C: D1ED0055 00D20905
	v_cmp_u_f32_e64 s[46:47], v116, v116                       // 00000000CEA4: D048002E 0002E974
	v_add3_u32 v16, v116, v19, 1                               // 00000000CEAC: D1FF0010 02062774
	v_cndmask_b32_e64 v4, v16, v18, s[46:47]                   // 00000000CEB4: D1000004 00BA2510
	v_cmp_u_f32_e64 s[46:47], v117, v117                       // 00000000CEBC: D048002E 0002EB75
	v_add3_u32 v16, v117, v19, 1                               // 00000000CEC4: D1FF0010 02062775
	v_cndmask_b32_e64 v5, v16, v18, s[46:47]                   // 00000000CECC: D1000005 00BA2510
	v_perm_b32 v86, v5, v4, s52                                // 00000000CED4: D1ED0056 00D20905
	v_cmp_u_f32_e64 s[46:47], v118, v118                       // 00000000CEDC: D048002E 0002ED76
	v_add3_u32 v16, v118, v19, 1                               // 00000000CEE4: D1FF0010 02062776
	v_cndmask_b32_e64 v4, v16, v18, s[46:47]                   // 00000000CEEC: D1000004 00BA2510
	v_cmp_u_f32_e64 s[46:47], v119, v119                       // 00000000CEF4: D048002E 0002EF77
	v_add3_u32 v16, v119, v19, 1                               // 00000000CEFC: D1FF0010 02062777
	v_cndmask_b32_e64 v5, v16, v18, s[46:47]                   // 00000000CF04: D1000005 00BA2510
	v_perm_b32 v87, v5, v4, s52                                // 00000000CF0C: D1ED0057 00D20905
	v_cmp_u_f32_e64 s[46:47], v120, v120                       // 00000000CF14: D048002E 0002F178
	v_add3_u32 v16, v120, v19, 1                               // 00000000CF1C: D1FF0010 02062778
	v_cndmask_b32_e64 v4, v16, v18, s[46:47]                   // 00000000CF24: D1000004 00BA2510
	v_cmp_u_f32_e64 s[46:47], v121, v121                       // 00000000CF2C: D048002E 0002F379
	v_add3_u32 v16, v121, v19, 1                               // 00000000CF34: D1FF0010 02062779
	v_cndmask_b32_e64 v5, v16, v18, s[46:47]                   // 00000000CF3C: D1000005 00BA2510
	v_perm_b32 v88, v5, v4, s52                                // 00000000CF44: D1ED0058 00D20905
	v_cmp_u_f32_e64 s[46:47], v122, v122                       // 00000000CF4C: D048002E 0002F57A
	v_add3_u32 v16, v122, v19, 1                               // 00000000CF54: D1FF0010 0206277A
	v_cndmask_b32_e64 v4, v16, v18, s[46:47]                   // 00000000CF5C: D1000004 00BA2510
	v_cmp_u_f32_e64 s[46:47], v123, v123                       // 00000000CF64: D048002E 0002F77B
	v_add3_u32 v16, v123, v19, 1                               // 00000000CF6C: D1FF0010 0206277B
	v_cndmask_b32_e64 v5, v16, v18, s[46:47]                   // 00000000CF74: D1000005 00BA2510
	v_perm_b32 v89, v5, v4, s52                                // 00000000CF7C: D1ED0059 00D20905
	v_cmp_u_f32_e64 s[46:47], v124, v124                       // 00000000CF84: D048002E 0002F97C
	v_add3_u32 v16, v124, v19, 1                               // 00000000CF8C: D1FF0010 0206277C
	v_cndmask_b32_e64 v4, v16, v18, s[46:47]                   // 00000000CF94: D1000004 00BA2510
	v_cmp_u_f32_e64 s[46:47], v125, v125                       // 00000000CF9C: D048002E 0002FB7D
	v_add3_u32 v16, v125, v19, 1                               // 00000000CFA4: D1FF0010 0206277D
	v_cndmask_b32_e64 v5, v16, v18, s[46:47]                   // 00000000CFAC: D1000005 00BA2510
	v_perm_b32 v90, v5, v4, s52                                // 00000000CFB4: D1ED005A 00D20905
	v_cmp_u_f32_e64 s[46:47], v126, v126                       // 00000000CFBC: D048002E 0002FD7E
	v_add3_u32 v16, v126, v19, 1                               // 00000000CFC4: D1FF0010 0206277E
	v_cndmask_b32_e64 v4, v16, v18, s[46:47]                   // 00000000CFCC: D1000004 00BA2510
	v_cmp_u_f32_e64 s[46:47], v127, v127                       // 00000000CFD4: D048002E 0002FF7F
	v_add3_u32 v16, v127, v19, 1                               // 00000000CFDC: D1FF0010 0206277F
	v_cndmask_b32_e64 v5, v16, v18, s[46:47]                   // 00000000CFE4: D1000005 00BA2510
	v_perm_b32 v91, v5, v4, s52                                // 00000000CFEC: D1ED005B 00D20905
	v_cmp_u_f32_e64 s[46:47], v128, v128                       // 00000000CFF4: D048002E 00030180
	v_add3_u32 v16, v128, v19, 1                               // 00000000CFFC: D1FF0010 02062780
	v_cndmask_b32_e64 v4, v16, v18, s[46:47]                   // 00000000D004: D1000004 00BA2510
	v_cmp_u_f32_e64 s[46:47], v129, v129                       // 00000000D00C: D048002E 00030381
	v_add3_u32 v16, v129, v19, 1                               // 00000000D014: D1FF0010 02062781
	v_cndmask_b32_e64 v5, v16, v18, s[46:47]                   // 00000000D01C: D1000005 00BA2510
	v_perm_b32 v92, v5, v4, s52                                // 00000000D024: D1ED005C 00D20905
	v_cmp_u_f32_e64 s[46:47], v130, v130                       // 00000000D02C: D048002E 00030582
	v_add3_u32 v16, v130, v19, 1                               // 00000000D034: D1FF0010 02062782
	v_cndmask_b32_e64 v4, v16, v18, s[46:47]                   // 00000000D03C: D1000004 00BA2510
	v_cmp_u_f32_e64 s[46:47], v131, v131                       // 00000000D044: D048002E 00030783
	v_add3_u32 v16, v131, v19, 1                               // 00000000D04C: D1FF0010 02062783
	v_cndmask_b32_e64 v5, v16, v18, s[46:47]                   // 00000000D054: D1000005 00BA2510
	v_perm_b32 v93, v5, v4, s52                                // 00000000D05C: D1ED005D 00D20905
	v_cmp_u_f32_e64 s[46:47], v132, v132                       // 00000000D064: D048002E 00030984
	v_add3_u32 v16, v132, v19, 1                               // 00000000D06C: D1FF0010 02062784
	v_cndmask_b32_e64 v4, v16, v18, s[46:47]                   // 00000000D074: D1000004 00BA2510
	v_cmp_u_f32_e64 s[46:47], v133, v133                       // 00000000D07C: D048002E 00030B85
	v_add3_u32 v16, v133, v19, 1                               // 00000000D084: D1FF0010 02062785
	v_cndmask_b32_e64 v5, v16, v18, s[46:47]                   // 00000000D08C: D1000005 00BA2510
	v_perm_b32 v94, v5, v4, s52                                // 00000000D094: D1ED005E 00D20905
	v_cmp_u_f32_e64 s[46:47], v134, v134                       // 00000000D09C: D048002E 00030D86
	v_add3_u32 v16, v134, v19, 1                               // 00000000D0A4: D1FF0010 02062786
	v_cndmask_b32_e64 v4, v16, v18, s[46:47]                   // 00000000D0AC: D1000004 00BA2510
	v_cmp_u_f32_e64 s[46:47], v135, v135                       // 00000000D0B4: D048002E 00030F87
	v_add3_u32 v16, v135, v19, 1                               // 00000000D0BC: D1FF0010 02062787
	v_cndmask_b32_e64 v5, v16, v18, s[46:47]                   // 00000000D0C4: D1000005 00BA2510
	v_perm_b32 v95, v5, v4, s52                                // 00000000D0CC: D1ED005F 00D20905
	v_cmp_u_f32_e64 s[46:47], v136, v136                       // 00000000D0D4: D048002E 00031188
	v_add3_u32 v16, v136, v19, 1                               // 00000000D0DC: D1FF0010 02062788
	v_cndmask_b32_e64 v4, v16, v18, s[46:47]                   // 00000000D0E4: D1000004 00BA2510
	v_cmp_u_f32_e64 s[46:47], v137, v137                       // 00000000D0EC: D048002E 00031389
	v_add3_u32 v16, v137, v19, 1                               // 00000000D0F4: D1FF0010 02062789
	v_cndmask_b32_e64 v5, v16, v18, s[46:47]                   // 00000000D0FC: D1000005 00BA2510
	v_perm_b32 v96, v5, v4, s52                                // 00000000D104: D1ED0060 00D20905
	v_cmp_u_f32_e64 s[46:47], v138, v138                       // 00000000D10C: D048002E 0003158A
	v_add3_u32 v16, v138, v19, 1                               // 00000000D114: D1FF0010 0206278A
	v_cndmask_b32_e64 v4, v16, v18, s[46:47]                   // 00000000D11C: D1000004 00BA2510
	v_cmp_u_f32_e64 s[46:47], v139, v139                       // 00000000D124: D048002E 0003178B
	v_add3_u32 v16, v139, v19, 1                               // 00000000D12C: D1FF0010 0206278B
	v_cndmask_b32_e64 v5, v16, v18, s[46:47]                   // 00000000D134: D1000005 00BA2510
	v_perm_b32 v97, v5, v4, s52                                // 00000000D13C: D1ED0061 00D20905
	v_cmp_u_f32_e64 s[46:47], v140, v140                       // 00000000D144: D048002E 0003198C
	v_add3_u32 v16, v140, v19, 1                               // 00000000D14C: D1FF0010 0206278C
	v_cndmask_b32_e64 v4, v16, v18, s[46:47]                   // 00000000D154: D1000004 00BA2510
	v_cmp_u_f32_e64 s[46:47], v141, v141                       // 00000000D15C: D048002E 00031B8D
	v_add3_u32 v16, v141, v19, 1                               // 00000000D164: D1FF0010 0206278D
	v_cndmask_b32_e64 v5, v16, v18, s[46:47]                   // 00000000D16C: D1000005 00BA2510
	v_perm_b32 v98, v5, v4, s52                                // 00000000D174: D1ED0062 00D20905
	v_cmp_u_f32_e64 s[46:47], v142, v142                       // 00000000D17C: D048002E 00031D8E
	v_add3_u32 v16, v142, v19, 1                               // 00000000D184: D1FF0010 0206278E
	v_cndmask_b32_e64 v4, v16, v18, s[46:47]                   // 00000000D18C: D1000004 00BA2510
	v_cmp_u_f32_e64 s[46:47], v143, v143                       // 00000000D194: D048002E 00031F8F
	v_add3_u32 v16, v143, v19, 1                               // 00000000D19C: D1FF0010 0206278F
	v_cndmask_b32_e64 v5, v16, v18, s[46:47]                   // 00000000D1A4: D1000005 00BA2510
	v_perm_b32 v99, v5, v4, s52                                // 00000000D1AC: D1ED0063 00D20905
	v_cmp_u_f32_e64 s[46:47], v144, v144                       // 00000000D1B4: D048002E 00032190
	v_add3_u32 v16, v144, v19, 1                               // 00000000D1BC: D1FF0010 02062790
	v_cndmask_b32_e64 v4, v16, v18, s[46:47]                   // 00000000D1C4: D1000004 00BA2510
	v_cmp_u_f32_e64 s[46:47], v145, v145                       // 00000000D1CC: D048002E 00032391
	v_add3_u32 v16, v145, v19, 1                               // 00000000D1D4: D1FF0010 02062791
	v_cndmask_b32_e64 v5, v16, v18, s[46:47]                   // 00000000D1DC: D1000005 00BA2510
	v_perm_b32 v100, v5, v4, s52                               // 00000000D1E4: D1ED0064 00D20905
	v_cmp_u_f32_e64 s[46:47], v146, v146                       // 00000000D1EC: D048002E 00032592
	v_add3_u32 v16, v146, v19, 1                               // 00000000D1F4: D1FF0010 02062792
	v_cndmask_b32_e64 v4, v16, v18, s[46:47]                   // 00000000D1FC: D1000004 00BA2510
	v_cmp_u_f32_e64 s[46:47], v147, v147                       // 00000000D204: D048002E 00032793
	v_add3_u32 v16, v147, v19, 1                               // 00000000D20C: D1FF0010 02062793
	v_cndmask_b32_e64 v5, v16, v18, s[46:47]                   // 00000000D214: D1000005 00BA2510
	v_perm_b32 v101, v5, v4, s52                               // 00000000D21C: D1ED0065 00D20905
	v_cmp_u_f32_e64 s[46:47], v148, v148                       // 00000000D224: D048002E 00032994
	v_add3_u32 v16, v148, v19, 1                               // 00000000D22C: D1FF0010 02062794
	v_cndmask_b32_e64 v4, v16, v18, s[46:47]                   // 00000000D234: D1000004 00BA2510
	v_cmp_u_f32_e64 s[46:47], v149, v149                       // 00000000D23C: D048002E 00032B95
	v_add3_u32 v16, v149, v19, 1                               // 00000000D244: D1FF0010 02062795
	v_cndmask_b32_e64 v5, v16, v18, s[46:47]                   // 00000000D24C: D1000005 00BA2510
	v_perm_b32 v102, v5, v4, s52                               // 00000000D254: D1ED0066 00D20905
	v_cmp_u_f32_e64 s[46:47], v150, v150                       // 00000000D25C: D048002E 00032D96
	v_add3_u32 v16, v150, v19, 1                               // 00000000D264: D1FF0010 02062796
	v_cndmask_b32_e64 v4, v16, v18, s[46:47]                   // 00000000D26C: D1000004 00BA2510
	v_cmp_u_f32_e64 s[46:47], v151, v151                       // 00000000D274: D048002E 00032F97
	v_add3_u32 v16, v151, v19, 1                               // 00000000D27C: D1FF0010 02062797
	v_cndmask_b32_e64 v5, v16, v18, s[46:47]                   // 00000000D284: D1000005 00BA2510
	v_perm_b32 v103, v5, v4, s52                               // 00000000D28C: D1ED0067 00D20905
	ds_write_b64 v20, v[56:57]                                 // 00000000D294: D89A0000 00003814
	ds_write_b64 v20, v[58:59] offset:17408                    // 00000000D29C: D89A4400 00003A14
	ds_write_b64 v20, v[60:61] offset:34816                    // 00000000D2A4: D89A8800 00003C14
	ds_write_b64 v20, v[62:63] offset:2176                     // 00000000D2AC: D89A0880 00003E14
	ds_write_b64 v20, v[64:65] offset:19584                    // 00000000D2B4: D89A4C80 00004014
	ds_write_b64 v20, v[66:67] offset:36992                    // 00000000D2BC: D89A9080 00004214
	ds_write_b64 v20, v[68:69] offset:4352                     // 00000000D2C4: D89A1100 00004414
	ds_write_b64 v20, v[70:71] offset:21760                    // 00000000D2CC: D89A5500 00004614
	ds_write_b64 v20, v[72:73] offset:39168                    // 00000000D2D4: D89A9900 00004814
	ds_write_b64 v20, v[74:75] offset:6528                     // 00000000D2DC: D89A1980 00004A14
	ds_write_b64 v20, v[76:77] offset:23936                    // 00000000D2E4: D89A5D80 00004C14
	ds_write_b64 v20, v[78:79] offset:41344                    // 00000000D2EC: D89AA180 00004E14
	ds_write_b64 v20, v[80:81] offset:8704                     // 00000000D2F4: D89A2200 00005014
	ds_write_b64 v20, v[82:83] offset:26112                    // 00000000D2FC: D89A6600 00005214
	ds_write_b64 v20, v[84:85] offset:43520                    // 00000000D304: D89AAA00 00005414
	ds_write_b64 v20, v[86:87] offset:10880                    // 00000000D30C: D89A2A80 00005614
	ds_write_b64 v20, v[88:89] offset:28288                    // 00000000D314: D89A6E80 00005814
	ds_write_b64 v20, v[90:91] offset:45696                    // 00000000D31C: D89AB280 00005A14
	ds_write_b64 v20, v[92:93] offset:13056                    // 00000000D324: D89A3300 00005C14
	ds_write_b64 v20, v[94:95] offset:30464                    // 00000000D32C: D89A7700 00005E14
	ds_write_b64 v20, v[96:97] offset:47872                    // 00000000D334: D89ABB00 00006014
	ds_write_b64 v20, v[98:99] offset:15232                    // 00000000D33C: D89A3B80 00006214
	ds_write_b64 v20, v[100:101] offset:32640                  // 00000000D344: D89A7F80 00006414
	ds_write_b64 v20, v[102:103] offset:50048                  // 00000000D34C: D89AC380 00006614
	v_lshrrev_b32_e32 v4, 5, v0                                // 00000000D354: 20080085
	v_xor_b32_e32 v5, 1, v4                                    // 00000000D358: 2A0A0881
	s_mul_i32 s60, s65, 2                                      // 00000000D35C: 923C8241
	s_cmp_eq_u32 s88, 0                                        // 00000000D360: BF068058
	s_cselect_b32 s61, 1, 4                                    // 00000000D364: 853D8481
	s_mul_i32 s60, s61, s60                                    // 00000000D368: 923C3C3D
	v_readlane_b32 s82, v3, 0                                  // 00000000D36C: D2890052 00010103
	s_lshr_b32 s61, s82, 24                                    // 00000000D374: 8F3D9852
	s_and_b32 s82, s82, 0xffffff                               // 00000000D378: 8652FF52 00FFFFFF
	s_mul_i32 s82, s82, s71                                    // 00000000D380: 92524752
	s_mul_i32 s61, s60, s61                                    // 00000000D384: 923D3D3C
	s_add_u32 s82, s82, s61                                    // 00000000D388: 80523D52
	v_mul_lo_u32 v6, v5, s82                                   // 00000000D38C: D2850006 0000A505
	v_readlane_b32 s82, v3, 1                                  // 00000000D394: D2890052 00010303
	s_lshr_b32 s61, s82, 24                                    // 00000000D39C: 8F3D9852
	s_and_b32 s82, s82, 0xffffff                               // 00000000D3A0: 8652FF52 00FFFFFF
	s_mul_i32 s82, s82, s71                                    // 00000000D3A8: 92524752
	s_mul_i32 s61, s60, s61                                    // 00000000D3AC: 923D3D3C
	s_add_u32 s82, s82, s61                                    // 00000000D3B0: 80523D52
	v_mul_lo_u32 v7, v4, s82                                   // 00000000D3B4: D2850007 0000A504
	v_add_u32_e32 v41, v6, v7                                  // 00000000D3BC: 68520F06
	v_readlane_b32 s82, v3, 2                                  // 00000000D3C0: D2890052 00010503
	s_lshr_b32 s61, s82, 24                                    // 00000000D3C8: 8F3D9852
	s_and_b32 s82, s82, 0xffffff                               // 00000000D3CC: 8652FF52 00FFFFFF
	s_mul_i32 s82, s82, s71                                    // 00000000D3D4: 92524752
	s_mul_i32 s61, s60, s61                                    // 00000000D3D8: 923D3D3C
	s_add_u32 s82, s82, s61                                    // 00000000D3DC: 80523D52
	v_mul_lo_u32 v6, v5, s82                                   // 00000000D3E0: D2850006 0000A505
	v_readlane_b32 s82, v3, 3                                  // 00000000D3E8: D2890052 00010703
	s_lshr_b32 s61, s82, 24                                    // 00000000D3F0: 8F3D9852
	s_and_b32 s82, s82, 0xffffff                               // 00000000D3F4: 8652FF52 00FFFFFF
	s_mul_i32 s82, s82, s71                                    // 00000000D3FC: 92524752
	s_mul_i32 s61, s60, s61                                    // 00000000D400: 923D3D3C
	s_add_u32 s82, s82, s61                                    // 00000000D404: 80523D52
	v_mul_lo_u32 v7, v4, s82                                   // 00000000D408: D2850007 0000A504
	v_add_u32_e32 v42, v6, v7                                  // 00000000D410: 68540F06
	v_readlane_b32 s82, v3, 4                                  // 00000000D414: D2890052 00010903
	s_lshr_b32 s61, s82, 24                                    // 00000000D41C: 8F3D9852
	s_and_b32 s82, s82, 0xffffff                               // 00000000D420: 8652FF52 00FFFFFF
	s_mul_i32 s82, s82, s71                                    // 00000000D428: 92524752
	s_mul_i32 s61, s60, s61                                    // 00000000D42C: 923D3D3C
	s_add_u32 s82, s82, s61                                    // 00000000D430: 80523D52
	v_mul_lo_u32 v6, v5, s82                                   // 00000000D434: D2850006 0000A505
	v_readlane_b32 s82, v3, 5                                  // 00000000D43C: D2890052 00010B03
	s_lshr_b32 s61, s82, 24                                    // 00000000D444: 8F3D9852
	s_and_b32 s82, s82, 0xffffff                               // 00000000D448: 8652FF52 00FFFFFF
	s_mul_i32 s82, s82, s71                                    // 00000000D450: 92524752
	s_mul_i32 s61, s60, s61                                    // 00000000D454: 923D3D3C
	s_add_u32 s82, s82, s61                                    // 00000000D458: 80523D52
	v_mul_lo_u32 v7, v4, s82                                   // 00000000D45C: D2850007 0000A504
	v_add_u32_e32 v43, v6, v7                                  // 00000000D464: 68560F06
	v_readlane_b32 s82, v3, 6                                  // 00000000D468: D2890052 00010D03
	s_lshr_b32 s61, s82, 24                                    // 00000000D470: 8F3D9852
	s_and_b32 s82, s82, 0xffffff                               // 00000000D474: 8652FF52 00FFFFFF
	s_mul_i32 s82, s82, s71                                    // 00000000D47C: 92524752
	s_mul_i32 s61, s60, s61                                    // 00000000D480: 923D3D3C
	s_add_u32 s82, s82, s61                                    // 00000000D484: 80523D52
	v_mul_lo_u32 v6, v5, s82                                   // 00000000D488: D2850006 0000A505
	v_readlane_b32 s82, v3, 7                                  // 00000000D490: D2890052 00010F03
	s_lshr_b32 s61, s82, 24                                    // 00000000D498: 8F3D9852
	s_and_b32 s82, s82, 0xffffff                               // 00000000D49C: 8652FF52 00FFFFFF
	s_mul_i32 s82, s82, s71                                    // 00000000D4A4: 92524752
	s_mul_i32 s61, s60, s61                                    // 00000000D4A8: 923D3D3C
	s_add_u32 s82, s82, s61                                    // 00000000D4AC: 80523D52
	v_mul_lo_u32 v7, v4, s82                                   // 00000000D4B0: D2850007 0000A504
	v_add_u32_e32 v44, v6, v7                                  // 00000000D4B8: 68580F06
	v_readlane_b32 s82, v3, 8                                  // 00000000D4BC: D2890052 00011103
	s_lshr_b32 s61, s82, 24                                    // 00000000D4C4: 8F3D9852
	s_and_b32 s82, s82, 0xffffff                               // 00000000D4C8: 8652FF52 00FFFFFF
	s_mul_i32 s82, s82, s71                                    // 00000000D4D0: 92524752
	s_mul_i32 s61, s60, s61                                    // 00000000D4D4: 923D3D3C
	s_add_u32 s82, s82, s61                                    // 00000000D4D8: 80523D52
	v_mul_lo_u32 v6, v5, s82                                   // 00000000D4DC: D2850006 0000A505
	v_readlane_b32 s82, v3, 9                                  // 00000000D4E4: D2890052 00011303
	s_lshr_b32 s61, s82, 24                                    // 00000000D4EC: 8F3D9852
	s_and_b32 s82, s82, 0xffffff                               // 00000000D4F0: 8652FF52 00FFFFFF
	s_mul_i32 s82, s82, s71                                    // 00000000D4F8: 92524752
	s_mul_i32 s61, s60, s61                                    // 00000000D4FC: 923D3D3C
	s_add_u32 s82, s82, s61                                    // 00000000D500: 80523D52
	v_mul_lo_u32 v7, v4, s82                                   // 00000000D504: D2850007 0000A504
	v_add_u32_e32 v45, v6, v7                                  // 00000000D50C: 685A0F06
	v_readlane_b32 s82, v3, 10                                 // 00000000D510: D2890052 00011503
	s_lshr_b32 s61, s82, 24                                    // 00000000D518: 8F3D9852
	s_and_b32 s82, s82, 0xffffff                               // 00000000D51C: 8652FF52 00FFFFFF
	s_mul_i32 s82, s82, s71                                    // 00000000D524: 92524752
	s_mul_i32 s61, s60, s61                                    // 00000000D528: 923D3D3C
	s_add_u32 s82, s82, s61                                    // 00000000D52C: 80523D52
	v_mul_lo_u32 v6, v5, s82                                   // 00000000D530: D2850006 0000A505
	v_readlane_b32 s82, v3, 11                                 // 00000000D538: D2890052 00011703
	s_lshr_b32 s61, s82, 24                                    // 00000000D540: 8F3D9852
	s_and_b32 s82, s82, 0xffffff                               // 00000000D544: 8652FF52 00FFFFFF
	s_mul_i32 s82, s82, s71                                    // 00000000D54C: 92524752
	s_mul_i32 s61, s60, s61                                    // 00000000D550: 923D3D3C
	s_add_u32 s82, s82, s61                                    // 00000000D554: 80523D52
	v_mul_lo_u32 v7, v4, s82                                   // 00000000D558: D2850007 0000A504
	v_add_u32_e32 v46, v6, v7                                  // 00000000D560: 685C0F06
	v_and_b32_e32 v4, 31, v0                                   // 00000000D564: 2608009F
	v_lshrrev_b32_e32 v4, 1, v4                                // 00000000D568: 20080881
	s_cmp_eq_u32 s88, 0                                        // 00000000D56C: BF068058
	s_cselect_b32 s61, 2, 4                                    // 00000000D570: 853D8482
	v_mul_lo_u32 v4, v4, s61                                   // 00000000D574: D2850004 00007B04
	v_and_b32_e64 v5, v0, 1                                    // 00000000D57C: D1130005 00010300
	v_add_u32_e32 v4, v4, v5                                   // 00000000D584: 68080B04
	v_lshlrev_b32_e32 v4, 2, v4                                // 00000000D588: 24080882
	v_add_u32_e32 v41, v41, v4                                 // 00000000D58C: 68520929
	v_add_u32_e32 v42, v42, v4                                 // 00000000D590: 6854092A
	v_add_u32_e32 v43, v43, v4                                 // 00000000D594: 6856092B
	v_add_u32_e32 v44, v44, v4                                 // 00000000D598: 6858092C
	v_add_u32_e32 v45, v45, v4                                 // 00000000D59C: 685A092D
	v_add_u32_e32 v46, v46, v4                                 // 00000000D5A0: 685C092E
	s_waitcnt lgkmcnt(0)                                       // 00000000D5A4: BF8CC07F
	s_barrier                                                  // 00000000D5A8: BF8A0000
	ds_read_b32 v56, v21                                       // 00000000D5AC: D86C0000 38000015
	ds_read_b32 v57, v21 offset:64                             // 00000000D5B4: D86C0040 39000015
	ds_read_b32 v58, v21 offset:2176                           // 00000000D5BC: D86C0880 3A000015
	ds_read_b32 v59, v21 offset:2240                           // 00000000D5C4: D86C08C0 3B000015
	ds_read_b32 v60, v21 offset:4352                           // 00000000D5CC: D86C1100 3C000015
	ds_read_b32 v61, v21 offset:4416                           // 00000000D5D4: D86C1140 3D000015
	ds_read_b32 v62, v21 offset:6528                           // 00000000D5DC: D86C1980 3E000015
	ds_read_b32 v63, v21 offset:6592                           // 00000000D5E4: D86C19C0 3F000015
	ds_read_b32 v64, v21 offset:8704                           // 00000000D5EC: D86C2200 40000015
	ds_read_b32 v65, v21 offset:8768                           // 00000000D5F4: D86C2240 41000015
	ds_read_b32 v66, v21 offset:10880                          // 00000000D5FC: D86C2A80 42000015
	ds_read_b32 v67, v21 offset:10944                          // 00000000D604: D86C2AC0 43000015
	ds_read_b32 v68, v21 offset:13056                          // 00000000D60C: D86C3300 44000015
	ds_read_b32 v69, v21 offset:13120                          // 00000000D614: D86C3340 45000015
	ds_read_b32 v70, v21 offset:15232                          // 00000000D61C: D86C3B80 46000015
	ds_read_b32 v71, v21 offset:15296                          // 00000000D624: D86C3BC0 47000015
	ds_read_b32 v72, v21 offset:17408                          // 00000000D62C: D86C4400 48000015
	ds_read_b32 v73, v21 offset:17472                          // 00000000D634: D86C4440 49000015
	ds_read_b32 v74, v21 offset:19584                          // 00000000D63C: D86C4C80 4A000015
	ds_read_b32 v75, v21 offset:19648                          // 00000000D644: D86C4CC0 4B000015
	ds_read_b32 v76, v21 offset:21760                          // 00000000D64C: D86C5500 4C000015
	ds_read_b32 v77, v21 offset:21824                          // 00000000D654: D86C5540 4D000015
	ds_read_b32 v78, v21 offset:23936                          // 00000000D65C: D86C5D80 4E000015
	ds_read_b32 v79, v21 offset:24000                          // 00000000D664: D86C5DC0 4F000015
	ds_read_b32 v80, v21 offset:26112                          // 00000000D66C: D86C6600 50000015
	ds_read_b32 v81, v21 offset:26176                          // 00000000D674: D86C6640 51000015
	ds_read_b32 v82, v21 offset:28288                          // 00000000D67C: D86C6E80 52000015
	ds_read_b32 v83, v21 offset:28352                          // 00000000D684: D86C6EC0 53000015
	ds_read_b32 v84, v21 offset:30464                          // 00000000D68C: D86C7700 54000015
	ds_read_b32 v85, v21 offset:30528                          // 00000000D694: D86C7740 55000015
	ds_read_b32 v86, v21 offset:32640                          // 00000000D69C: D86C7F80 56000015
	ds_read_b32 v87, v21 offset:32704                          // 00000000D6A4: D86C7FC0 57000015
	ds_read_b32 v88, v21 offset:34816                          // 00000000D6AC: D86C8800 58000015
	ds_read_b32 v89, v21 offset:34880                          // 00000000D6B4: D86C8840 59000015
	ds_read_b32 v90, v21 offset:36992                          // 00000000D6BC: D86C9080 5A000015
	ds_read_b32 v91, v21 offset:37056                          // 00000000D6C4: D86C90C0 5B000015
	ds_read_b32 v92, v21 offset:39168                          // 00000000D6CC: D86C9900 5C000015
	ds_read_b32 v93, v21 offset:39232                          // 00000000D6D4: D86C9940 5D000015
	ds_read_b32 v94, v21 offset:41344                          // 00000000D6DC: D86CA180 5E000015
	ds_read_b32 v95, v21 offset:41408                          // 00000000D6E4: D86CA1C0 5F000015
	ds_read_b32 v96, v21 offset:43520                          // 00000000D6EC: D86CAA00 60000015
	ds_read_b32 v97, v21 offset:43584                          // 00000000D6F4: D86CAA40 61000015
	ds_read_b32 v98, v21 offset:45696                          // 00000000D6FC: D86CB280 62000015
	ds_read_b32 v99, v21 offset:45760                          // 00000000D704: D86CB2C0 63000015
	ds_read_b32 v100, v21 offset:47872                         // 00000000D70C: D86CBB00 64000015
	ds_read_b32 v101, v21 offset:47936                         // 00000000D714: D86CBB40 65000015
	ds_read_b32 v102, v21 offset:50048                         // 00000000D71C: D86CC380 66000015
	ds_read_b32 v103, v21 offset:50112                         // 00000000D724: D86CC3C0 67000015
	s_waitcnt lgkmcnt(0)                                       // 00000000D72C: BF8CC07F
	s_mov_b32 s36, -1                                          // 00000000D730: BEA400C1
	s_mov_b32 s37, -1                                          // 00000000D734: BEA500C1
	v_mov_b32_e32 v7, 0                                        // 00000000D738: 7E0E0280
	s_or_b32 s9, s9, 0x40000                                   // 00000000D73C: 8709FF09 00040000
	s_mov_b64 exec, s[36:37]                                   // 00000000D744: BEFE0124
	v_mov_b32_e32 v6, v41                                      // 00000000D748: 7E0C0329
	s_mov_b64 s[60:61], 0                                      // 00000000D74C: BEBC0180
	v_readlane_b32 s82, v3, 0                                  // 00000000D750: D2890052 00010103
	s_and_b32 s82, s82, 0xffffff                               // 00000000D758: 8652FF52 00FFFFFF
	s_cmp_lt_u32 s82, s66                                      // 00000000D760: BF0A4252
	s_cselect_b32 s20, s36, s60                                // 00000000D764: 85143C24
	v_readlane_b32 s82, v3, 1                                  // 00000000D768: D2890052 00010303
	s_and_b32 s82, s82, 0xffffff                               // 00000000D770: 8652FF52 00FFFFFF
	s_cmp_lt_u32 s82, s66                                      // 00000000D778: BF0A4252
	s_cselect_b32 s21, s36, s60                                // 00000000D77C: 85153C24
	s_mov_b64 exec, s[20:21]                                   // 00000000D780: BEFE0114
	buffer_store_dword v56, v6, s[8:11], 0 offen               // 00000000D784: E0701000 80023806
	buffer_store_dword v58, v6, s[8:11], 0 offen offset:128    // 00000000D78C: E0701080 80023A06
	buffer_store_dword v60, v6, s[8:11], 0 offen offset:256    // 00000000D794: E0701100 80023C06
	buffer_store_dword v62, v6, s[8:11], 0 offen offset:384    // 00000000D79C: E0701180 80023E06
	buffer_store_dword v64, v6, s[8:11], 0 offen offset:512    // 00000000D7A4: E0701200 80024006
	buffer_store_dword v66, v6, s[8:11], 0 offen offset:640    // 00000000D7AC: E0701280 80024206
	buffer_store_dword v68, v6, s[8:11], 0 offen offset:768    // 00000000D7B4: E0701300 80024406
	buffer_store_dword v70, v6, s[8:11], 0 offen offset:896    // 00000000D7BC: E0701380 80024606
	s_mov_b64 exec, s[36:37]                                   // 00000000D7C4: BEFE0124
	v_mov_b32_e32 v6, v42                                      // 00000000D7C8: 7E0C032A
	s_mov_b64 s[60:61], 0                                      // 00000000D7CC: BEBC0180
	v_readlane_b32 s82, v3, 2                                  // 00000000D7D0: D2890052 00010503
	s_and_b32 s82, s82, 0xffffff                               // 00000000D7D8: 8652FF52 00FFFFFF
	s_cmp_lt_u32 s82, s66                                      // 00000000D7E0: BF0A4252
	s_cselect_b32 s20, s36, s60                                // 00000000D7E4: 85143C24
	v_readlane_b32 s82, v3, 3                                  // 00000000D7E8: D2890052 00010703
	s_and_b32 s82, s82, 0xffffff                               // 00000000D7F0: 8652FF52 00FFFFFF
	s_cmp_lt_u32 s82, s66                                      // 00000000D7F8: BF0A4252
	s_cselect_b32 s21, s36, s60                                // 00000000D7FC: 85153C24
	s_mov_b64 exec, s[20:21]                                   // 00000000D800: BEFE0114
	buffer_store_dword v57, v6, s[8:11], 0 offen               // 00000000D804: E0701000 80023906
	buffer_store_dword v59, v6, s[8:11], 0 offen offset:128    // 00000000D80C: E0701080 80023B06
	buffer_store_dword v61, v6, s[8:11], 0 offen offset:256    // 00000000D814: E0701100 80023D06
	buffer_store_dword v63, v6, s[8:11], 0 offen offset:384    // 00000000D81C: E0701180 80023F06
	buffer_store_dword v65, v6, s[8:11], 0 offen offset:512    // 00000000D824: E0701200 80024106
	buffer_store_dword v67, v6, s[8:11], 0 offen offset:640    // 00000000D82C: E0701280 80024306
	buffer_store_dword v69, v6, s[8:11], 0 offen offset:768    // 00000000D834: E0701300 80024506
	buffer_store_dword v71, v6, s[8:11], 0 offen offset:896    // 00000000D83C: E0701380 80024706
	s_mov_b64 exec, s[36:37]                                   // 00000000D844: BEFE0124
	v_mov_b32_e32 v6, v43                                      // 00000000D848: 7E0C032B
	s_mov_b64 s[60:61], 0                                      // 00000000D84C: BEBC0180
	v_readlane_b32 s82, v3, 4                                  // 00000000D850: D2890052 00010903
	s_and_b32 s82, s82, 0xffffff                               // 00000000D858: 8652FF52 00FFFFFF
	s_cmp_lt_u32 s82, s66                                      // 00000000D860: BF0A4252
	s_cselect_b32 s20, s36, s60                                // 00000000D864: 85143C24
	v_readlane_b32 s82, v3, 5                                  // 00000000D868: D2890052 00010B03
	s_and_b32 s82, s82, 0xffffff                               // 00000000D870: 8652FF52 00FFFFFF
	s_cmp_lt_u32 s82, s66                                      // 00000000D878: BF0A4252
	s_cselect_b32 s21, s36, s60                                // 00000000D87C: 85153C24
	s_mov_b64 exec, s[20:21]                                   // 00000000D880: BEFE0114
	buffer_store_dword v72, v6, s[8:11], 0 offen               // 00000000D884: E0701000 80024806
	buffer_store_dword v74, v6, s[8:11], 0 offen offset:128    // 00000000D88C: E0701080 80024A06
	buffer_store_dword v76, v6, s[8:11], 0 offen offset:256    // 00000000D894: E0701100 80024C06
	buffer_store_dword v78, v6, s[8:11], 0 offen offset:384    // 00000000D89C: E0701180 80024E06
	buffer_store_dword v80, v6, s[8:11], 0 offen offset:512    // 00000000D8A4: E0701200 80025006
	buffer_store_dword v82, v6, s[8:11], 0 offen offset:640    // 00000000D8AC: E0701280 80025206
	buffer_store_dword v84, v6, s[8:11], 0 offen offset:768    // 00000000D8B4: E0701300 80025406
	buffer_store_dword v86, v6, s[8:11], 0 offen offset:896    // 00000000D8BC: E0701380 80025606
	s_mov_b64 exec, s[36:37]                                   // 00000000D8C4: BEFE0124
	v_mov_b32_e32 v6, v44                                      // 00000000D8C8: 7E0C032C
	s_mov_b64 s[60:61], 0                                      // 00000000D8CC: BEBC0180
	v_readlane_b32 s82, v3, 6                                  // 00000000D8D0: D2890052 00010D03
	s_and_b32 s82, s82, 0xffffff                               // 00000000D8D8: 8652FF52 00FFFFFF
	s_cmp_lt_u32 s82, s66                                      // 00000000D8E0: BF0A4252
	s_cselect_b32 s20, s36, s60                                // 00000000D8E4: 85143C24
	v_readlane_b32 s82, v3, 7                                  // 00000000D8E8: D2890052 00010F03
	s_and_b32 s82, s82, 0xffffff                               // 00000000D8F0: 8652FF52 00FFFFFF
	s_cmp_lt_u32 s82, s66                                      // 00000000D8F8: BF0A4252
	s_cselect_b32 s21, s36, s60                                // 00000000D8FC: 85153C24
	s_mov_b64 exec, s[20:21]                                   // 00000000D900: BEFE0114
	buffer_store_dword v73, v6, s[8:11], 0 offen               // 00000000D904: E0701000 80024906
	buffer_store_dword v75, v6, s[8:11], 0 offen offset:128    // 00000000D90C: E0701080 80024B06
	buffer_store_dword v77, v6, s[8:11], 0 offen offset:256    // 00000000D914: E0701100 80024D06
	buffer_store_dword v79, v6, s[8:11], 0 offen offset:384    // 00000000D91C: E0701180 80024F06
	buffer_store_dword v81, v6, s[8:11], 0 offen offset:512    // 00000000D924: E0701200 80025106
	buffer_store_dword v83, v6, s[8:11], 0 offen offset:640    // 00000000D92C: E0701280 80025306
	buffer_store_dword v85, v6, s[8:11], 0 offen offset:768    // 00000000D934: E0701300 80025506
	buffer_store_dword v87, v6, s[8:11], 0 offen offset:896    // 00000000D93C: E0701380 80025706
	s_mov_b64 exec, s[36:37]                                   // 00000000D944: BEFE0124
	v_mov_b32_e32 v6, v45                                      // 00000000D948: 7E0C032D
	s_mov_b64 s[60:61], 0                                      // 00000000D94C: BEBC0180
	v_readlane_b32 s82, v3, 8                                  // 00000000D950: D2890052 00011103
	s_and_b32 s82, s82, 0xffffff                               // 00000000D958: 8652FF52 00FFFFFF
	s_cmp_lt_u32 s82, s66                                      // 00000000D960: BF0A4252
	s_cselect_b32 s20, s36, s60                                // 00000000D964: 85143C24
	v_readlane_b32 s82, v3, 9                                  // 00000000D968: D2890052 00011303
	s_and_b32 s82, s82, 0xffffff                               // 00000000D970: 8652FF52 00FFFFFF
	s_cmp_lt_u32 s82, s66                                      // 00000000D978: BF0A4252
	s_cselect_b32 s21, s36, s60                                // 00000000D97C: 85153C24
	s_mov_b64 exec, s[20:21]                                   // 00000000D980: BEFE0114
	buffer_store_dword v88, v6, s[8:11], 0 offen               // 00000000D984: E0701000 80025806
	buffer_store_dword v90, v6, s[8:11], 0 offen offset:128    // 00000000D98C: E0701080 80025A06
	buffer_store_dword v92, v6, s[8:11], 0 offen offset:256    // 00000000D994: E0701100 80025C06
	buffer_store_dword v94, v6, s[8:11], 0 offen offset:384    // 00000000D99C: E0701180 80025E06
	buffer_store_dword v96, v6, s[8:11], 0 offen offset:512    // 00000000D9A4: E0701200 80026006
	buffer_store_dword v98, v6, s[8:11], 0 offen offset:640    // 00000000D9AC: E0701280 80026206
	buffer_store_dword v100, v6, s[8:11], 0 offen offset:768   // 00000000D9B4: E0701300 80026406
	buffer_store_dword v102, v6, s[8:11], 0 offen offset:896   // 00000000D9BC: E0701380 80026606
	s_mov_b64 exec, s[36:37]                                   // 00000000D9C4: BEFE0124
	v_mov_b32_e32 v6, v46                                      // 00000000D9C8: 7E0C032E
	s_mov_b64 s[60:61], 0                                      // 00000000D9CC: BEBC0180
	v_readlane_b32 s82, v3, 10                                 // 00000000D9D0: D2890052 00011503
	s_and_b32 s82, s82, 0xffffff                               // 00000000D9D8: 8652FF52 00FFFFFF
	s_cmp_lt_u32 s82, s66                                      // 00000000D9E0: BF0A4252
	s_cselect_b32 s20, s36, s60                                // 00000000D9E4: 85143C24
	v_readlane_b32 s82, v3, 11                                 // 00000000D9E8: D2890052 00011703
	s_and_b32 s82, s82, 0xffffff                               // 00000000D9F0: 8652FF52 00FFFFFF
	s_cmp_lt_u32 s82, s66                                      // 00000000D9F8: BF0A4252
	s_cselect_b32 s21, s36, s60                                // 00000000D9FC: 85153C24
	s_mov_b64 exec, s[20:21]                                   // 00000000DA00: BEFE0114
	buffer_store_dword v89, v6, s[8:11], 0 offen               // 00000000DA04: E0701000 80025906
	buffer_store_dword v91, v6, s[8:11], 0 offen offset:128    // 00000000DA0C: E0701080 80025B06
	buffer_store_dword v93, v6, s[8:11], 0 offen offset:256    // 00000000DA14: E0701100 80025D06
	buffer_store_dword v95, v6, s[8:11], 0 offen offset:384    // 00000000DA1C: E0701180 80025F06
	buffer_store_dword v97, v6, s[8:11], 0 offen offset:512    // 00000000DA24: E0701200 80026106
	buffer_store_dword v99, v6, s[8:11], 0 offen offset:640    // 00000000DA2C: E0701280 80026306
	buffer_store_dword v101, v6, s[8:11], 0 offen offset:768   // 00000000DA34: E0701300 80026506
	buffer_store_dword v103, v6, s[8:11], 0 offen offset:896   // 00000000DA3C: E0701380 80026706
	s_mov_b64 exec, s[36:37]                                   // 00000000DA44: BEFE0124
	s_branch label_3204                                        // 00000000DA48: BF8205EE

000000000000da4c <label_2C16>:
	ds_write_b64 v20, v[56:57]                                 // 00000000DA4C: D89A0000 00003814
	ds_write_b64 v20, v[60:61] offset:17408                    // 00000000DA54: D89A4400 00003C14
	ds_write_b64 v20, v[64:65] offset:34816                    // 00000000DA5C: D89A8800 00004014
	ds_write_b64 v20, v[68:69] offset:2176                     // 00000000DA64: D89A0880 00004414
	ds_write_b64 v20, v[72:73] offset:19584                    // 00000000DA6C: D89A4C80 00004814
	ds_write_b64 v20, v[76:77] offset:36992                    // 00000000DA74: D89A9080 00004C14
	ds_write_b64 v20, v[80:81] offset:4352                     // 00000000DA7C: D89A1100 00005014
	ds_write_b64 v20, v[84:85] offset:21760                    // 00000000DA84: D89A5500 00005414
	ds_write_b64 v20, v[88:89] offset:39168                    // 00000000DA8C: D89A9900 00005814
	ds_write_b64 v20, v[92:93] offset:6528                     // 00000000DA94: D89A1980 00005C14
	ds_write_b64 v20, v[96:97] offset:23936                    // 00000000DA9C: D89A5D80 00006014
	ds_write_b64 v20, v[100:101] offset:41344                  // 00000000DAA4: D89AA180 00006414
	ds_write_b64 v20, v[104:105] offset:8704                   // 00000000DAAC: D89A2200 00006814
	ds_write_b64 v20, v[108:109] offset:26112                  // 00000000DAB4: D89A6600 00006C14
	ds_write_b64 v20, v[112:113] offset:43520                  // 00000000DABC: D89AAA00 00007014
	ds_write_b64 v20, v[116:117] offset:10880                  // 00000000DAC4: D89A2A80 00007414
	ds_write_b64 v20, v[120:121] offset:28288                  // 00000000DACC: D89A6E80 00007814
	ds_write_b64 v20, v[124:125] offset:45696                  // 00000000DAD4: D89AB280 00007C14
	ds_write_b64 v20, v[128:129] offset:13056                  // 00000000DADC: D89A3300 00008014
	ds_write_b64 v20, v[132:133] offset:30464                  // 00000000DAE4: D89A7700 00008414
	ds_write_b64 v20, v[136:137] offset:47872                  // 00000000DAEC: D89ABB00 00008814
	ds_write_b64 v20, v[140:141] offset:15232                  // 00000000DAF4: D89A3B80 00008C14
	ds_write_b64 v20, v[144:145] offset:32640                  // 00000000DAFC: D89A7F80 00009014
	ds_write_b64 v20, v[148:149] offset:50048                  // 00000000DB04: D89AC380 00009414
	v_lshrrev_b32_e32 v4, 5, v0                                // 00000000DB0C: 20080085
	v_xor_b32_e32 v5, 1, v4                                    // 00000000DB10: 2A0A0881
	s_mul_i32 s60, s65, 2                                      // 00000000DB14: 923C8241
	s_cmp_eq_u32 s88, 0                                        // 00000000DB18: BF068058
	s_cselect_b32 s61, 1, 4                                    // 00000000DB1C: 853D8481
	s_mul_i32 s60, s61, s60                                    // 00000000DB20: 923C3C3D
	v_readlane_b32 s82, v3, 0                                  // 00000000DB24: D2890052 00010103
	s_lshr_b32 s61, s82, 24                                    // 00000000DB2C: 8F3D9852
	s_and_b32 s82, s82, 0xffffff                               // 00000000DB30: 8652FF52 00FFFFFF
	s_mul_i32 s82, s82, s71                                    // 00000000DB38: 92524752
	s_mul_i32 s61, s60, s61                                    // 00000000DB3C: 923D3D3C
	s_add_u32 s82, s82, s61                                    // 00000000DB40: 80523D52
	v_mul_lo_u32 v6, v5, s82                                   // 00000000DB44: D2850006 0000A505
	v_readlane_b32 s82, v3, 1                                  // 00000000DB4C: D2890052 00010303
	s_lshr_b32 s61, s82, 24                                    // 00000000DB54: 8F3D9852
	s_and_b32 s82, s82, 0xffffff                               // 00000000DB58: 8652FF52 00FFFFFF
	s_mul_i32 s82, s82, s71                                    // 00000000DB60: 92524752
	s_mul_i32 s61, s60, s61                                    // 00000000DB64: 923D3D3C
	s_add_u32 s82, s82, s61                                    // 00000000DB68: 80523D52
	v_mul_lo_u32 v7, v4, s82                                   // 00000000DB6C: D2850007 0000A504
	v_add_u32_e32 v41, v6, v7                                  // 00000000DB74: 68520F06
	v_readlane_b32 s82, v3, 2                                  // 00000000DB78: D2890052 00010503
	s_lshr_b32 s61, s82, 24                                    // 00000000DB80: 8F3D9852
	s_and_b32 s82, s82, 0xffffff                               // 00000000DB84: 8652FF52 00FFFFFF
	s_mul_i32 s82, s82, s71                                    // 00000000DB8C: 92524752
	s_mul_i32 s61, s60, s61                                    // 00000000DB90: 923D3D3C
	s_add_u32 s82, s82, s61                                    // 00000000DB94: 80523D52
	v_mul_lo_u32 v6, v5, s82                                   // 00000000DB98: D2850006 0000A505
	v_readlane_b32 s82, v3, 3                                  // 00000000DBA0: D2890052 00010703
	s_lshr_b32 s61, s82, 24                                    // 00000000DBA8: 8F3D9852
	s_and_b32 s82, s82, 0xffffff                               // 00000000DBAC: 8652FF52 00FFFFFF
	s_mul_i32 s82, s82, s71                                    // 00000000DBB4: 92524752
	s_mul_i32 s61, s60, s61                                    // 00000000DBB8: 923D3D3C
	s_add_u32 s82, s82, s61                                    // 00000000DBBC: 80523D52
	v_mul_lo_u32 v7, v4, s82                                   // 00000000DBC0: D2850007 0000A504
	v_add_u32_e32 v42, v6, v7                                  // 00000000DBC8: 68540F06
	v_readlane_b32 s82, v3, 4                                  // 00000000DBCC: D2890052 00010903
	s_lshr_b32 s61, s82, 24                                    // 00000000DBD4: 8F3D9852
	s_and_b32 s82, s82, 0xffffff                               // 00000000DBD8: 8652FF52 00FFFFFF
	s_mul_i32 s82, s82, s71                                    // 00000000DBE0: 92524752
	s_mul_i32 s61, s60, s61                                    // 00000000DBE4: 923D3D3C
	s_add_u32 s82, s82, s61                                    // 00000000DBE8: 80523D52
	v_mul_lo_u32 v6, v5, s82                                   // 00000000DBEC: D2850006 0000A505
	v_readlane_b32 s82, v3, 5                                  // 00000000DBF4: D2890052 00010B03
	s_lshr_b32 s61, s82, 24                                    // 00000000DBFC: 8F3D9852
	s_and_b32 s82, s82, 0xffffff                               // 00000000DC00: 8652FF52 00FFFFFF
	s_mul_i32 s82, s82, s71                                    // 00000000DC08: 92524752
	s_mul_i32 s61, s60, s61                                    // 00000000DC0C: 923D3D3C
	s_add_u32 s82, s82, s61                                    // 00000000DC10: 80523D52
	v_mul_lo_u32 v7, v4, s82                                   // 00000000DC14: D2850007 0000A504
	v_add_u32_e32 v43, v6, v7                                  // 00000000DC1C: 68560F06
	v_readlane_b32 s82, v3, 6                                  // 00000000DC20: D2890052 00010D03
	s_lshr_b32 s61, s82, 24                                    // 00000000DC28: 8F3D9852
	s_and_b32 s82, s82, 0xffffff                               // 00000000DC2C: 8652FF52 00FFFFFF
	s_mul_i32 s82, s82, s71                                    // 00000000DC34: 92524752
	s_mul_i32 s61, s60, s61                                    // 00000000DC38: 923D3D3C
	s_add_u32 s82, s82, s61                                    // 00000000DC3C: 80523D52
	v_mul_lo_u32 v6, v5, s82                                   // 00000000DC40: D2850006 0000A505
	v_readlane_b32 s82, v3, 7                                  // 00000000DC48: D2890052 00010F03
	s_lshr_b32 s61, s82, 24                                    // 00000000DC50: 8F3D9852
	s_and_b32 s82, s82, 0xffffff                               // 00000000DC54: 8652FF52 00FFFFFF
	s_mul_i32 s82, s82, s71                                    // 00000000DC5C: 92524752
	s_mul_i32 s61, s60, s61                                    // 00000000DC60: 923D3D3C
	s_add_u32 s82, s82, s61                                    // 00000000DC64: 80523D52
	v_mul_lo_u32 v7, v4, s82                                   // 00000000DC68: D2850007 0000A504
	v_add_u32_e32 v44, v6, v7                                  // 00000000DC70: 68580F06
	v_readlane_b32 s82, v3, 8                                  // 00000000DC74: D2890052 00011103
	s_lshr_b32 s61, s82, 24                                    // 00000000DC7C: 8F3D9852
	s_and_b32 s82, s82, 0xffffff                               // 00000000DC80: 8652FF52 00FFFFFF
	s_mul_i32 s82, s82, s71                                    // 00000000DC88: 92524752
	s_mul_i32 s61, s60, s61                                    // 00000000DC8C: 923D3D3C
	s_add_u32 s82, s82, s61                                    // 00000000DC90: 80523D52
	v_mul_lo_u32 v6, v5, s82                                   // 00000000DC94: D2850006 0000A505
	v_readlane_b32 s82, v3, 9                                  // 00000000DC9C: D2890052 00011303
	s_lshr_b32 s61, s82, 24                                    // 00000000DCA4: 8F3D9852
	s_and_b32 s82, s82, 0xffffff                               // 00000000DCA8: 8652FF52 00FFFFFF
	s_mul_i32 s82, s82, s71                                    // 00000000DCB0: 92524752
	s_mul_i32 s61, s60, s61                                    // 00000000DCB4: 923D3D3C
	s_add_u32 s82, s82, s61                                    // 00000000DCB8: 80523D52
	v_mul_lo_u32 v7, v4, s82                                   // 00000000DCBC: D2850007 0000A504
	v_add_u32_e32 v45, v6, v7                                  // 00000000DCC4: 685A0F06
	v_readlane_b32 s82, v3, 10                                 // 00000000DCC8: D2890052 00011503
	s_lshr_b32 s61, s82, 24                                    // 00000000DCD0: 8F3D9852
	s_and_b32 s82, s82, 0xffffff                               // 00000000DCD4: 8652FF52 00FFFFFF
	s_mul_i32 s82, s82, s71                                    // 00000000DCDC: 92524752
	s_mul_i32 s61, s60, s61                                    // 00000000DCE0: 923D3D3C
	s_add_u32 s82, s82, s61                                    // 00000000DCE4: 80523D52
	v_mul_lo_u32 v6, v5, s82                                   // 00000000DCE8: D2850006 0000A505
	v_readlane_b32 s82, v3, 11                                 // 00000000DCF0: D2890052 00011703
	s_lshr_b32 s61, s82, 24                                    // 00000000DCF8: 8F3D9852
	s_and_b32 s82, s82, 0xffffff                               // 00000000DCFC: 8652FF52 00FFFFFF
	s_mul_i32 s82, s82, s71                                    // 00000000DD04: 92524752
	s_mul_i32 s61, s60, s61                                    // 00000000DD08: 923D3D3C
	s_add_u32 s82, s82, s61                                    // 00000000DD0C: 80523D52
	v_mul_lo_u32 v7, v4, s82                                   // 00000000DD10: D2850007 0000A504
	v_add_u32_e32 v46, v6, v7                                  // 00000000DD18: 685C0F06
	v_and_b32_e32 v4, 31, v0                                   // 00000000DD1C: 2608009F
	v_lshrrev_b32_e32 v4, 1, v4                                // 00000000DD20: 20080881
	s_cmp_eq_u32 s88, 0                                        // 00000000DD24: BF068058
	s_cselect_b32 s61, 2, 4                                    // 00000000DD28: 853D8482
	v_mul_lo_u32 v4, v4, s61                                   // 00000000DD2C: D2850004 00007B04
	v_and_b32_e64 v5, v0, 1                                    // 00000000DD34: D1130005 00010300
	v_add_u32_e32 v4, v4, v5                                   // 00000000DD3C: 68080B04
	v_lshlrev_b32_e32 v4, 2, v4                                // 00000000DD40: 24080882
	v_add_u32_e32 v41, v41, v4                                 // 00000000DD44: 68520929
	v_add_u32_e32 v42, v42, v4                                 // 00000000DD48: 6854092A
	v_add_u32_e32 v43, v43, v4                                 // 00000000DD4C: 6856092B
	v_add_u32_e32 v44, v44, v4                                 // 00000000DD50: 6858092C
	v_add_u32_e32 v45, v45, v4                                 // 00000000DD54: 685A092D
	v_add_u32_e32 v46, v46, v4                                 // 00000000DD58: 685C092E
	s_waitcnt lgkmcnt(0)                                       // 00000000DD5C: BF8CC07F
	s_barrier                                                  // 00000000DD60: BF8A0000
	ds_read_b32 v56, v21                                       // 00000000DD64: D86C0000 38000015
	ds_read_b32 v57, v21 offset:64                             // 00000000DD6C: D86C0040 39000015
	ds_read_b32 v60, v21 offset:2176                           // 00000000DD74: D86C0880 3C000015
	ds_read_b32 v61, v21 offset:2240                           // 00000000DD7C: D86C08C0 3D000015
	ds_read_b32 v64, v21 offset:4352                           // 00000000DD84: D86C1100 40000015
	ds_read_b32 v65, v21 offset:4416                           // 00000000DD8C: D86C1140 41000015
	ds_read_b32 v68, v21 offset:6528                           // 00000000DD94: D86C1980 44000015
	ds_read_b32 v69, v21 offset:6592                           // 00000000DD9C: D86C19C0 45000015
	ds_read_b32 v72, v21 offset:8704                           // 00000000DDA4: D86C2200 48000015
	ds_read_b32 v73, v21 offset:8768                           // 00000000DDAC: D86C2240 49000015
	ds_read_b32 v76, v21 offset:10880                          // 00000000DDB4: D86C2A80 4C000015
	ds_read_b32 v77, v21 offset:10944                          // 00000000DDBC: D86C2AC0 4D000015
	ds_read_b32 v80, v21 offset:13056                          // 00000000DDC4: D86C3300 50000015
	ds_read_b32 v81, v21 offset:13120                          // 00000000DDCC: D86C3340 51000015
	ds_read_b32 v84, v21 offset:15232                          // 00000000DDD4: D86C3B80 54000015
	ds_read_b32 v85, v21 offset:15296                          // 00000000DDDC: D86C3BC0 55000015
	ds_read_b32 v88, v21 offset:17408                          // 00000000DDE4: D86C4400 58000015
	ds_read_b32 v89, v21 offset:17472                          // 00000000DDEC: D86C4440 59000015
	ds_read_b32 v92, v21 offset:19584                          // 00000000DDF4: D86C4C80 5C000015
	ds_read_b32 v93, v21 offset:19648                          // 00000000DDFC: D86C4CC0 5D000015
	ds_read_b32 v96, v21 offset:21760                          // 00000000DE04: D86C5500 60000015
	ds_read_b32 v97, v21 offset:21824                          // 00000000DE0C: D86C5540 61000015
	ds_read_b32 v100, v21 offset:23936                         // 00000000DE14: D86C5D80 64000015
	ds_read_b32 v101, v21 offset:24000                         // 00000000DE1C: D86C5DC0 65000015
	ds_read_b32 v104, v21 offset:26112                         // 00000000DE24: D86C6600 68000015
	ds_read_b32 v105, v21 offset:26176                         // 00000000DE2C: D86C6640 69000015
	ds_read_b32 v108, v21 offset:28288                         // 00000000DE34: D86C6E80 6C000015
	ds_read_b32 v109, v21 offset:28352                         // 00000000DE3C: D86C6EC0 6D000015
	ds_read_b32 v112, v21 offset:30464                         // 00000000DE44: D86C7700 70000015
	ds_read_b32 v113, v21 offset:30528                         // 00000000DE4C: D86C7740 71000015
	ds_read_b32 v116, v21 offset:32640                         // 00000000DE54: D86C7F80 74000015
	ds_read_b32 v117, v21 offset:32704                         // 00000000DE5C: D86C7FC0 75000015
	ds_read_b32 v120, v21 offset:34816                         // 00000000DE64: D86C8800 78000015
	ds_read_b32 v121, v21 offset:34880                         // 00000000DE6C: D86C8840 79000015
	ds_read_b32 v124, v21 offset:36992                         // 00000000DE74: D86C9080 7C000015
	ds_read_b32 v125, v21 offset:37056                         // 00000000DE7C: D86C90C0 7D000015
	ds_read_b32 v128, v21 offset:39168                         // 00000000DE84: D86C9900 80000015
	ds_read_b32 v129, v21 offset:39232                         // 00000000DE8C: D86C9940 81000015
	ds_read_b32 v132, v21 offset:41344                         // 00000000DE94: D86CA180 84000015
	ds_read_b32 v133, v21 offset:41408                         // 00000000DE9C: D86CA1C0 85000015
	ds_read_b32 v136, v21 offset:43520                         // 00000000DEA4: D86CAA00 88000015
	ds_read_b32 v137, v21 offset:43584                         // 00000000DEAC: D86CAA40 89000015
	ds_read_b32 v140, v21 offset:45696                         // 00000000DEB4: D86CB280 8C000015
	ds_read_b32 v141, v21 offset:45760                         // 00000000DEBC: D86CB2C0 8D000015
	ds_read_b32 v144, v21 offset:47872                         // 00000000DEC4: D86CBB00 90000015
	ds_read_b32 v145, v21 offset:47936                         // 00000000DECC: D86CBB40 91000015
	ds_read_b32 v148, v21 offset:50048                         // 00000000DED4: D86CC380 94000015
	ds_read_b32 v149, v21 offset:50112                         // 00000000DEDC: D86CC3C0 95000015
	s_waitcnt lgkmcnt(0)                                       // 00000000DEE4: BF8CC07F
	s_mov_b32 s36, -1                                          // 00000000DEE8: BEA400C1
	s_mov_b32 s37, -1                                          // 00000000DEEC: BEA500C1
	v_mov_b32_e32 v7, 0                                        // 00000000DEF0: 7E0E0280
	s_mov_b64 exec, s[36:37]                                   // 00000000DEF4: BEFE0124
	v_mov_b32_e32 v6, v41                                      // 00000000DEF8: 7E0C0329
	s_mov_b64 s[60:61], 0                                      // 00000000DEFC: BEBC0180
	v_readlane_b32 s82, v3, 0                                  // 00000000DF00: D2890052 00010103
	s_and_b32 s82, s82, 0xffffff                               // 00000000DF08: 8652FF52 00FFFFFF
	s_cmp_lt_u32 s82, s66                                      // 00000000DF10: BF0A4252
	s_cselect_b32 s20, s36, s60                                // 00000000DF14: 85143C24
	v_readlane_b32 s82, v3, 1                                  // 00000000DF18: D2890052 00010303
	s_and_b32 s82, s82, 0xffffff                               // 00000000DF20: 8652FF52 00FFFFFF
	s_cmp_lt_u32 s82, s66                                      // 00000000DF28: BF0A4252
	s_cselect_b32 s21, s36, s60                                // 00000000DF2C: 85153C24
	s_mov_b64 exec, s[20:21]                                   // 00000000DF30: BEFE0114
	global_atomic_add_f32 v6, v56, s[8:9]                      // 00000000DF34: DD348000 00083806
	global_atomic_add_f32 v6, v60, s[8:9] offset:256           // 00000000DF3C: DD348100 00083C06
	global_atomic_add_f32 v6, v64, s[8:9] offset:512           // 00000000DF44: DD348200 00084006
	global_atomic_add_f32 v6, v68, s[8:9] offset:768           // 00000000DF4C: DD348300 00084406
	global_atomic_add_f32 v6, v72, s[8:9] offset:1024          // 00000000DF54: DD348400 00084806
	global_atomic_add_f32 v6, v76, s[8:9] offset:1280          // 00000000DF5C: DD348500 00084C06
	global_atomic_add_f32 v6, v80, s[8:9] offset:1536          // 00000000DF64: DD348600 00085006
	global_atomic_add_f32 v6, v84, s[8:9] offset:1792          // 00000000DF6C: DD348700 00085406
	s_mov_b64 exec, s[36:37]                                   // 00000000DF74: BEFE0124
	v_mov_b32_e32 v6, v42                                      // 00000000DF78: 7E0C032A
	s_mov_b64 s[60:61], 0                                      // 00000000DF7C: BEBC0180
	v_readlane_b32 s82, v3, 2                                  // 00000000DF80: D2890052 00010503
	s_and_b32 s82, s82, 0xffffff                               // 00000000DF88: 8652FF52 00FFFFFF
	s_cmp_lt_u32 s82, s66                                      // 00000000DF90: BF0A4252
	s_cselect_b32 s20, s36, s60                                // 00000000DF94: 85143C24
	v_readlane_b32 s82, v3, 3                                  // 00000000DF98: D2890052 00010703
	s_and_b32 s82, s82, 0xffffff                               // 00000000DFA0: 8652FF52 00FFFFFF
	s_cmp_lt_u32 s82, s66                                      // 00000000DFA8: BF0A4252
	s_cselect_b32 s21, s36, s60                                // 00000000DFAC: 85153C24
	s_mov_b64 exec, s[20:21]                                   // 00000000DFB0: BEFE0114
	global_atomic_add_f32 v6, v57, s[8:9]                      // 00000000DFB4: DD348000 00083906
	global_atomic_add_f32 v6, v61, s[8:9] offset:256           // 00000000DFBC: DD348100 00083D06
	global_atomic_add_f32 v6, v65, s[8:9] offset:512           // 00000000DFC4: DD348200 00084106
	global_atomic_add_f32 v6, v69, s[8:9] offset:768           // 00000000DFCC: DD348300 00084506
	global_atomic_add_f32 v6, v73, s[8:9] offset:1024          // 00000000DFD4: DD348400 00084906
	global_atomic_add_f32 v6, v77, s[8:9] offset:1280          // 00000000DFDC: DD348500 00084D06
	global_atomic_add_f32 v6, v81, s[8:9] offset:1536          // 00000000DFE4: DD348600 00085106
	global_atomic_add_f32 v6, v85, s[8:9] offset:1792          // 00000000DFEC: DD348700 00085506
	s_mov_b64 exec, s[36:37]                                   // 00000000DFF4: BEFE0124
	v_mov_b32_e32 v6, v43                                      // 00000000DFF8: 7E0C032B
	s_mov_b64 s[60:61], 0                                      // 00000000DFFC: BEBC0180
	v_readlane_b32 s82, v3, 4                                  // 00000000E000: D2890052 00010903
	s_and_b32 s82, s82, 0xffffff                               // 00000000E008: 8652FF52 00FFFFFF
	s_cmp_lt_u32 s82, s66                                      // 00000000E010: BF0A4252
	s_cselect_b32 s20, s36, s60                                // 00000000E014: 85143C24
	v_readlane_b32 s82, v3, 5                                  // 00000000E018: D2890052 00010B03
	s_and_b32 s82, s82, 0xffffff                               // 00000000E020: 8652FF52 00FFFFFF
	s_cmp_lt_u32 s82, s66                                      // 00000000E028: BF0A4252
	s_cselect_b32 s21, s36, s60                                // 00000000E02C: 85153C24
	s_mov_b64 exec, s[20:21]                                   // 00000000E030: BEFE0114
	global_atomic_add_f32 v6, v88, s[8:9]                      // 00000000E034: DD348000 00085806
	global_atomic_add_f32 v6, v92, s[8:9] offset:256           // 00000000E03C: DD348100 00085C06
	global_atomic_add_f32 v6, v96, s[8:9] offset:512           // 00000000E044: DD348200 00086006
	global_atomic_add_f32 v6, v100, s[8:9] offset:768          // 00000000E04C: DD348300 00086406
	global_atomic_add_f32 v6, v104, s[8:9] offset:1024         // 00000000E054: DD348400 00086806
	global_atomic_add_f32 v6, v108, s[8:9] offset:1280         // 00000000E05C: DD348500 00086C06
	global_atomic_add_f32 v6, v112, s[8:9] offset:1536         // 00000000E064: DD348600 00087006
	global_atomic_add_f32 v6, v116, s[8:9] offset:1792         // 00000000E06C: DD348700 00087406
	s_mov_b64 exec, s[36:37]                                   // 00000000E074: BEFE0124
	v_mov_b32_e32 v6, v44                                      // 00000000E078: 7E0C032C
	s_mov_b64 s[60:61], 0                                      // 00000000E07C: BEBC0180
	v_readlane_b32 s82, v3, 6                                  // 00000000E080: D2890052 00010D03
	s_and_b32 s82, s82, 0xffffff                               // 00000000E088: 8652FF52 00FFFFFF
	s_cmp_lt_u32 s82, s66                                      // 00000000E090: BF0A4252
	s_cselect_b32 s20, s36, s60                                // 00000000E094: 85143C24
	v_readlane_b32 s82, v3, 7                                  // 00000000E098: D2890052 00010F03
	s_and_b32 s82, s82, 0xffffff                               // 00000000E0A0: 8652FF52 00FFFFFF
	s_cmp_lt_u32 s82, s66                                      // 00000000E0A8: BF0A4252
	s_cselect_b32 s21, s36, s60                                // 00000000E0AC: 85153C24
	s_mov_b64 exec, s[20:21]                                   // 00000000E0B0: BEFE0114
	global_atomic_add_f32 v6, v89, s[8:9]                      // 00000000E0B4: DD348000 00085906
	global_atomic_add_f32 v6, v93, s[8:9] offset:256           // 00000000E0BC: DD348100 00085D06
	global_atomic_add_f32 v6, v97, s[8:9] offset:512           // 00000000E0C4: DD348200 00086106
	global_atomic_add_f32 v6, v101, s[8:9] offset:768          // 00000000E0CC: DD348300 00086506
	global_atomic_add_f32 v6, v105, s[8:9] offset:1024         // 00000000E0D4: DD348400 00086906
	global_atomic_add_f32 v6, v109, s[8:9] offset:1280         // 00000000E0DC: DD348500 00086D06
	global_atomic_add_f32 v6, v113, s[8:9] offset:1536         // 00000000E0E4: DD348600 00087106
	global_atomic_add_f32 v6, v117, s[8:9] offset:1792         // 00000000E0EC: DD348700 00087506
	s_mov_b64 exec, s[36:37]                                   // 00000000E0F4: BEFE0124
	v_mov_b32_e32 v6, v45                                      // 00000000E0F8: 7E0C032D
	s_mov_b64 s[60:61], 0                                      // 00000000E0FC: BEBC0180
	v_readlane_b32 s82, v3, 8                                  // 00000000E100: D2890052 00011103
	s_and_b32 s82, s82, 0xffffff                               // 00000000E108: 8652FF52 00FFFFFF
	s_cmp_lt_u32 s82, s66                                      // 00000000E110: BF0A4252
	s_cselect_b32 s20, s36, s60                                // 00000000E114: 85143C24
	v_readlane_b32 s82, v3, 9                                  // 00000000E118: D2890052 00011303
	s_and_b32 s82, s82, 0xffffff                               // 00000000E120: 8652FF52 00FFFFFF
	s_cmp_lt_u32 s82, s66                                      // 00000000E128: BF0A4252
	s_cselect_b32 s21, s36, s60                                // 00000000E12C: 85153C24
	s_mov_b64 exec, s[20:21]                                   // 00000000E130: BEFE0114
	global_atomic_add_f32 v6, v120, s[8:9]                     // 00000000E134: DD348000 00087806
	global_atomic_add_f32 v6, v124, s[8:9] offset:256          // 00000000E13C: DD348100 00087C06
	global_atomic_add_f32 v6, v128, s[8:9] offset:512          // 00000000E144: DD348200 00088006
	global_atomic_add_f32 v6, v132, s[8:9] offset:768          // 00000000E14C: DD348300 00088406
	global_atomic_add_f32 v6, v136, s[8:9] offset:1024         // 00000000E154: DD348400 00088806
	global_atomic_add_f32 v6, v140, s[8:9] offset:1280         // 00000000E15C: DD348500 00088C06
	global_atomic_add_f32 v6, v144, s[8:9] offset:1536         // 00000000E164: DD348600 00089006
	global_atomic_add_f32 v6, v148, s[8:9] offset:1792         // 00000000E16C: DD348700 00089406
	s_mov_b64 exec, s[36:37]                                   // 00000000E174: BEFE0124
	v_mov_b32_e32 v6, v46                                      // 00000000E178: 7E0C032E
	s_mov_b64 s[60:61], 0                                      // 00000000E17C: BEBC0180
	v_readlane_b32 s82, v3, 10                                 // 00000000E180: D2890052 00011503
	s_and_b32 s82, s82, 0xffffff                               // 00000000E188: 8652FF52 00FFFFFF
	s_cmp_lt_u32 s82, s66                                      // 00000000E190: BF0A4252
	s_cselect_b32 s20, s36, s60                                // 00000000E194: 85143C24
	v_readlane_b32 s82, v3, 11                                 // 00000000E198: D2890052 00011703
	s_and_b32 s82, s82, 0xffffff                               // 00000000E1A0: 8652FF52 00FFFFFF
	s_cmp_lt_u32 s82, s66                                      // 00000000E1A8: BF0A4252
	s_cselect_b32 s21, s36, s60                                // 00000000E1AC: 85153C24
	s_mov_b64 exec, s[20:21]                                   // 00000000E1B0: BEFE0114
	global_atomic_add_f32 v6, v121, s[8:9]                     // 00000000E1B4: DD348000 00087906
	global_atomic_add_f32 v6, v125, s[8:9] offset:256          // 00000000E1BC: DD348100 00087D06
	global_atomic_add_f32 v6, v129, s[8:9] offset:512          // 00000000E1C4: DD348200 00088106
	global_atomic_add_f32 v6, v133, s[8:9] offset:768          // 00000000E1CC: DD348300 00088506
	global_atomic_add_f32 v6, v137, s[8:9] offset:1024         // 00000000E1D4: DD348400 00088906
	global_atomic_add_f32 v6, v141, s[8:9] offset:1280         // 00000000E1DC: DD348500 00088D06
	global_atomic_add_f32 v6, v145, s[8:9] offset:1536         // 00000000E1E4: DD348600 00089106
	global_atomic_add_f32 v6, v149, s[8:9] offset:1792         // 00000000E1EC: DD348700 00089506
	s_mov_b64 exec, s[36:37]                                   // 00000000E1F4: BEFE0124
	ds_write_b64 v20, v[58:59]                                 // 00000000E1F8: D89A0000 00003A14
	ds_write_b64 v20, v[62:63] offset:17408                    // 00000000E200: D89A4400 00003E14
	ds_write_b64 v20, v[66:67] offset:34816                    // 00000000E208: D89A8800 00004214
	ds_write_b64 v20, v[70:71] offset:2176                     // 00000000E210: D89A0880 00004614
	ds_write_b64 v20, v[74:75] offset:19584                    // 00000000E218: D89A4C80 00004A14
	ds_write_b64 v20, v[78:79] offset:36992                    // 00000000E220: D89A9080 00004E14
	ds_write_b64 v20, v[82:83] offset:4352                     // 00000000E228: D89A1100 00005214
	ds_write_b64 v20, v[86:87] offset:21760                    // 00000000E230: D89A5500 00005614
	ds_write_b64 v20, v[90:91] offset:39168                    // 00000000E238: D89A9900 00005A14
	ds_write_b64 v20, v[94:95] offset:6528                     // 00000000E240: D89A1980 00005E14
	ds_write_b64 v20, v[98:99] offset:23936                    // 00000000E248: D89A5D80 00006214
	ds_write_b64 v20, v[102:103] offset:41344                  // 00000000E250: D89AA180 00006614
	ds_write_b64 v20, v[106:107] offset:8704                   // 00000000E258: D89A2200 00006A14
	ds_write_b64 v20, v[110:111] offset:26112                  // 00000000E260: D89A6600 00006E14
	ds_write_b64 v20, v[114:115] offset:43520                  // 00000000E268: D89AAA00 00007214
	ds_write_b64 v20, v[118:119] offset:10880                  // 00000000E270: D89A2A80 00007614
	ds_write_b64 v20, v[122:123] offset:28288                  // 00000000E278: D89A6E80 00007A14
	ds_write_b64 v20, v[126:127] offset:45696                  // 00000000E280: D89AB280 00007E14
	ds_write_b64 v20, v[130:131] offset:13056                  // 00000000E288: D89A3300 00008214
	ds_write_b64 v20, v[134:135] offset:30464                  // 00000000E290: D89A7700 00008614
	ds_write_b64 v20, v[138:139] offset:47872                  // 00000000E298: D89ABB00 00008A14
	ds_write_b64 v20, v[142:143] offset:15232                  // 00000000E2A0: D89A3B80 00008E14
	ds_write_b64 v20, v[146:147] offset:32640                  // 00000000E2A8: D89A7F80 00009214
	ds_write_b64 v20, v[150:151] offset:50048                  // 00000000E2B0: D89AC380 00009614
	s_waitcnt lgkmcnt(0)                                       // 00000000E2B8: BF8CC07F
	s_barrier                                                  // 00000000E2BC: BF8A0000
	ds_read_b32 v58, v21                                       // 00000000E2C0: D86C0000 3A000015
	ds_read_b32 v59, v21 offset:64                             // 00000000E2C8: D86C0040 3B000015
	ds_read_b32 v62, v21 offset:2176                           // 00000000E2D0: D86C0880 3E000015
	ds_read_b32 v63, v21 offset:2240                           // 00000000E2D8: D86C08C0 3F000015
	ds_read_b32 v66, v21 offset:4352                           // 00000000E2E0: D86C1100 42000015
	ds_read_b32 v67, v21 offset:4416                           // 00000000E2E8: D86C1140 43000015
	ds_read_b32 v70, v21 offset:6528                           // 00000000E2F0: D86C1980 46000015
	ds_read_b32 v71, v21 offset:6592                           // 00000000E2F8: D86C19C0 47000015
	ds_read_b32 v74, v21 offset:8704                           // 00000000E300: D86C2200 4A000015
	ds_read_b32 v75, v21 offset:8768                           // 00000000E308: D86C2240 4B000015
	ds_read_b32 v78, v21 offset:10880                          // 00000000E310: D86C2A80 4E000015
	ds_read_b32 v79, v21 offset:10944                          // 00000000E318: D86C2AC0 4F000015
	ds_read_b32 v82, v21 offset:13056                          // 00000000E320: D86C3300 52000015
	ds_read_b32 v83, v21 offset:13120                          // 00000000E328: D86C3340 53000015
	ds_read_b32 v86, v21 offset:15232                          // 00000000E330: D86C3B80 56000015
	ds_read_b32 v87, v21 offset:15296                          // 00000000E338: D86C3BC0 57000015
	ds_read_b32 v90, v21 offset:17408                          // 00000000E340: D86C4400 5A000015
	ds_read_b32 v91, v21 offset:17472                          // 00000000E348: D86C4440 5B000015
	ds_read_b32 v94, v21 offset:19584                          // 00000000E350: D86C4C80 5E000015
	ds_read_b32 v95, v21 offset:19648                          // 00000000E358: D86C4CC0 5F000015
	ds_read_b32 v98, v21 offset:21760                          // 00000000E360: D86C5500 62000015
	ds_read_b32 v99, v21 offset:21824                          // 00000000E368: D86C5540 63000015
	ds_read_b32 v102, v21 offset:23936                         // 00000000E370: D86C5D80 66000015
	ds_read_b32 v103, v21 offset:24000                         // 00000000E378: D86C5DC0 67000015
	ds_read_b32 v106, v21 offset:26112                         // 00000000E380: D86C6600 6A000015
	ds_read_b32 v107, v21 offset:26176                         // 00000000E388: D86C6640 6B000015
	ds_read_b32 v110, v21 offset:28288                         // 00000000E390: D86C6E80 6E000015
	ds_read_b32 v111, v21 offset:28352                         // 00000000E398: D86C6EC0 6F000015
	ds_read_b32 v114, v21 offset:30464                         // 00000000E3A0: D86C7700 72000015
	ds_read_b32 v115, v21 offset:30528                         // 00000000E3A8: D86C7740 73000015
	ds_read_b32 v118, v21 offset:32640                         // 00000000E3B0: D86C7F80 76000015
	ds_read_b32 v119, v21 offset:32704                         // 00000000E3B8: D86C7FC0 77000015
	ds_read_b32 v122, v21 offset:34816                         // 00000000E3C0: D86C8800 7A000015
	ds_read_b32 v123, v21 offset:34880                         // 00000000E3C8: D86C8840 7B000015
	ds_read_b32 v126, v21 offset:36992                         // 00000000E3D0: D86C9080 7E000015
	ds_read_b32 v127, v21 offset:37056                         // 00000000E3D8: D86C90C0 7F000015
	ds_read_b32 v130, v21 offset:39168                         // 00000000E3E0: D86C9900 82000015
	ds_read_b32 v131, v21 offset:39232                         // 00000000E3E8: D86C9940 83000015
	ds_read_b32 v134, v21 offset:41344                         // 00000000E3F0: D86CA180 86000015
	ds_read_b32 v135, v21 offset:41408                         // 00000000E3F8: D86CA1C0 87000015
	ds_read_b32 v138, v21 offset:43520                         // 00000000E400: D86CAA00 8A000015
	ds_read_b32 v139, v21 offset:43584                         // 00000000E408: D86CAA40 8B000015
	ds_read_b32 v142, v21 offset:45696                         // 00000000E410: D86CB280 8E000015
	ds_read_b32 v143, v21 offset:45760                         // 00000000E418: D86CB2C0 8F000015
	ds_read_b32 v146, v21 offset:47872                         // 00000000E420: D86CBB00 92000015
	ds_read_b32 v147, v21 offset:47936                         // 00000000E428: D86CBB40 93000015
	ds_read_b32 v150, v21 offset:50048                         // 00000000E430: D86CC380 96000015
	ds_read_b32 v151, v21 offset:50112                         // 00000000E438: D86CC3C0 97000015
	s_waitcnt lgkmcnt(0)                                       // 00000000E440: BF8CC07F
	v_mov_b32_e32 v7, 0                                        // 00000000E444: 7E0E0280
	s_mov_b64 exec, s[36:37]                                   // 00000000E448: BEFE0124
	v_mov_b32_e32 v6, v41                                      // 00000000E44C: 7E0C0329
	s_mov_b64 s[60:61], 0                                      // 00000000E450: BEBC0180
	v_readlane_b32 s82, v3, 0                                  // 00000000E454: D2890052 00010103
	s_and_b32 s82, s82, 0xffffff                               // 00000000E45C: 8652FF52 00FFFFFF
	s_cmp_lt_u32 s82, s66                                      // 00000000E464: BF0A4252
	s_cselect_b32 s20, s36, s60                                // 00000000E468: 85143C24
	v_readlane_b32 s82, v3, 1                                  // 00000000E46C: D2890052 00010303
	s_and_b32 s82, s82, 0xffffff                               // 00000000E474: 8652FF52 00FFFFFF
	s_cmp_lt_u32 s82, s66                                      // 00000000E47C: BF0A4252
	s_cselect_b32 s21, s36, s60                                // 00000000E480: 85153C24
	s_mov_b64 exec, s[20:21]                                   // 00000000E484: BEFE0114
	global_atomic_add_f32 v6, v58, s[8:9] offset:8             // 00000000E488: DD348008 00083A06
	global_atomic_add_f32 v6, v62, s[8:9] offset:264           // 00000000E490: DD348108 00083E06
	global_atomic_add_f32 v6, v66, s[8:9] offset:520           // 00000000E498: DD348208 00084206
	global_atomic_add_f32 v6, v70, s[8:9] offset:776           // 00000000E4A0: DD348308 00084606
	global_atomic_add_f32 v6, v74, s[8:9] offset:1032          // 00000000E4A8: DD348408 00084A06
	global_atomic_add_f32 v6, v78, s[8:9] offset:1288          // 00000000E4B0: DD348508 00084E06
	global_atomic_add_f32 v6, v82, s[8:9] offset:1544          // 00000000E4B8: DD348608 00085206
	global_atomic_add_f32 v6, v86, s[8:9] offset:1800          // 00000000E4C0: DD348708 00085606
	s_mov_b64 exec, s[36:37]                                   // 00000000E4C8: BEFE0124
	v_mov_b32_e32 v6, v42                                      // 00000000E4CC: 7E0C032A
	s_mov_b64 s[60:61], 0                                      // 00000000E4D0: BEBC0180
	v_readlane_b32 s82, v3, 2                                  // 00000000E4D4: D2890052 00010503
	s_and_b32 s82, s82, 0xffffff                               // 00000000E4DC: 8652FF52 00FFFFFF
	s_cmp_lt_u32 s82, s66                                      // 00000000E4E4: BF0A4252
	s_cselect_b32 s20, s36, s60                                // 00000000E4E8: 85143C24
	v_readlane_b32 s82, v3, 3                                  // 00000000E4EC: D2890052 00010703
	s_and_b32 s82, s82, 0xffffff                               // 00000000E4F4: 8652FF52 00FFFFFF
	s_cmp_lt_u32 s82, s66                                      // 00000000E4FC: BF0A4252
	s_cselect_b32 s21, s36, s60                                // 00000000E500: 85153C24
	s_mov_b64 exec, s[20:21]                                   // 00000000E504: BEFE0114
	global_atomic_add_f32 v6, v59, s[8:9] offset:8             // 00000000E508: DD348008 00083B06
	global_atomic_add_f32 v6, v63, s[8:9] offset:264           // 00000000E510: DD348108 00083F06
	global_atomic_add_f32 v6, v67, s[8:9] offset:520           // 00000000E518: DD348208 00084306
	global_atomic_add_f32 v6, v71, s[8:9] offset:776           // 00000000E520: DD348308 00084706
	global_atomic_add_f32 v6, v75, s[8:9] offset:1032          // 00000000E528: DD348408 00084B06
	global_atomic_add_f32 v6, v79, s[8:9] offset:1288          // 00000000E530: DD348508 00084F06
	global_atomic_add_f32 v6, v83, s[8:9] offset:1544          // 00000000E538: DD348608 00085306
	global_atomic_add_f32 v6, v87, s[8:9] offset:1800          // 00000000E540: DD348708 00085706
	s_mov_b64 exec, s[36:37]                                   // 00000000E548: BEFE0124
	v_mov_b32_e32 v6, v43                                      // 00000000E54C: 7E0C032B
	s_mov_b64 s[60:61], 0                                      // 00000000E550: BEBC0180
	v_readlane_b32 s82, v3, 4                                  // 00000000E554: D2890052 00010903
	s_and_b32 s82, s82, 0xffffff                               // 00000000E55C: 8652FF52 00FFFFFF
	s_cmp_lt_u32 s82, s66                                      // 00000000E564: BF0A4252
	s_cselect_b32 s20, s36, s60                                // 00000000E568: 85143C24
	v_readlane_b32 s82, v3, 5                                  // 00000000E56C: D2890052 00010B03
	s_and_b32 s82, s82, 0xffffff                               // 00000000E574: 8652FF52 00FFFFFF
	s_cmp_lt_u32 s82, s66                                      // 00000000E57C: BF0A4252
	s_cselect_b32 s21, s36, s60                                // 00000000E580: 85153C24
	s_mov_b64 exec, s[20:21]                                   // 00000000E584: BEFE0114
	global_atomic_add_f32 v6, v90, s[8:9] offset:8             // 00000000E588: DD348008 00085A06
	global_atomic_add_f32 v6, v94, s[8:9] offset:264           // 00000000E590: DD348108 00085E06
	global_atomic_add_f32 v6, v98, s[8:9] offset:520           // 00000000E598: DD348208 00086206
	global_atomic_add_f32 v6, v102, s[8:9] offset:776          // 00000000E5A0: DD348308 00086606
	global_atomic_add_f32 v6, v106, s[8:9] offset:1032         // 00000000E5A8: DD348408 00086A06
	global_atomic_add_f32 v6, v110, s[8:9] offset:1288         // 00000000E5B0: DD348508 00086E06
	global_atomic_add_f32 v6, v114, s[8:9] offset:1544         // 00000000E5B8: DD348608 00087206
	global_atomic_add_f32 v6, v118, s[8:9] offset:1800         // 00000000E5C0: DD348708 00087606
	s_mov_b64 exec, s[36:37]                                   // 00000000E5C8: BEFE0124
	v_mov_b32_e32 v6, v44                                      // 00000000E5CC: 7E0C032C
	s_mov_b64 s[60:61], 0                                      // 00000000E5D0: BEBC0180
	v_readlane_b32 s82, v3, 6                                  // 00000000E5D4: D2890052 00010D03
	s_and_b32 s82, s82, 0xffffff                               // 00000000E5DC: 8652FF52 00FFFFFF
	s_cmp_lt_u32 s82, s66                                      // 00000000E5E4: BF0A4252
	s_cselect_b32 s20, s36, s60                                // 00000000E5E8: 85143C24
	v_readlane_b32 s82, v3, 7                                  // 00000000E5EC: D2890052 00010F03
	s_and_b32 s82, s82, 0xffffff                               // 00000000E5F4: 8652FF52 00FFFFFF
	s_cmp_lt_u32 s82, s66                                      // 00000000E5FC: BF0A4252
	s_cselect_b32 s21, s36, s60                                // 00000000E600: 85153C24
	s_mov_b64 exec, s[20:21]                                   // 00000000E604: BEFE0114
	global_atomic_add_f32 v6, v91, s[8:9] offset:8             // 00000000E608: DD348008 00085B06
	global_atomic_add_f32 v6, v95, s[8:9] offset:264           // 00000000E610: DD348108 00085F06
	global_atomic_add_f32 v6, v99, s[8:9] offset:520           // 00000000E618: DD348208 00086306
	global_atomic_add_f32 v6, v103, s[8:9] offset:776          // 00000000E620: DD348308 00086706
	global_atomic_add_f32 v6, v107, s[8:9] offset:1032         // 00000000E628: DD348408 00086B06
	global_atomic_add_f32 v6, v111, s[8:9] offset:1288         // 00000000E630: DD348508 00086F06
	global_atomic_add_f32 v6, v115, s[8:9] offset:1544         // 00000000E638: DD348608 00087306
	global_atomic_add_f32 v6, v119, s[8:9] offset:1800         // 00000000E640: DD348708 00087706
	s_mov_b64 exec, s[36:37]                                   // 00000000E648: BEFE0124
	v_mov_b32_e32 v6, v45                                      // 00000000E64C: 7E0C032D
	s_mov_b64 s[60:61], 0                                      // 00000000E650: BEBC0180
	v_readlane_b32 s82, v3, 8                                  // 00000000E654: D2890052 00011103
	s_and_b32 s82, s82, 0xffffff                               // 00000000E65C: 8652FF52 00FFFFFF
	s_cmp_lt_u32 s82, s66                                      // 00000000E664: BF0A4252
	s_cselect_b32 s20, s36, s60                                // 00000000E668: 85143C24
	v_readlane_b32 s82, v3, 9                                  // 00000000E66C: D2890052 00011303
	s_and_b32 s82, s82, 0xffffff                               // 00000000E674: 8652FF52 00FFFFFF
	s_cmp_lt_u32 s82, s66                                      // 00000000E67C: BF0A4252
	s_cselect_b32 s21, s36, s60                                // 00000000E680: 85153C24
	s_mov_b64 exec, s[20:21]                                   // 00000000E684: BEFE0114
	global_atomic_add_f32 v6, v122, s[8:9] offset:8            // 00000000E688: DD348008 00087A06
	global_atomic_add_f32 v6, v126, s[8:9] offset:264          // 00000000E690: DD348108 00087E06
	global_atomic_add_f32 v6, v130, s[8:9] offset:520          // 00000000E698: DD348208 00088206
	global_atomic_add_f32 v6, v134, s[8:9] offset:776          // 00000000E6A0: DD348308 00088606
	global_atomic_add_f32 v6, v138, s[8:9] offset:1032         // 00000000E6A8: DD348408 00088A06
	global_atomic_add_f32 v6, v142, s[8:9] offset:1288         // 00000000E6B0: DD348508 00088E06
	global_atomic_add_f32 v6, v146, s[8:9] offset:1544         // 00000000E6B8: DD348608 00089206
	global_atomic_add_f32 v6, v150, s[8:9] offset:1800         // 00000000E6C0: DD348708 00089606
	s_mov_b64 exec, s[36:37]                                   // 00000000E6C8: BEFE0124
	v_mov_b32_e32 v6, v46                                      // 00000000E6CC: 7E0C032E
	s_mov_b64 s[60:61], 0                                      // 00000000E6D0: BEBC0180
	v_readlane_b32 s82, v3, 10                                 // 00000000E6D4: D2890052 00011503
	s_and_b32 s82, s82, 0xffffff                               // 00000000E6DC: 8652FF52 00FFFFFF
	s_cmp_lt_u32 s82, s66                                      // 00000000E6E4: BF0A4252
	s_cselect_b32 s20, s36, s60                                // 00000000E6E8: 85143C24
	v_readlane_b32 s82, v3, 11                                 // 00000000E6EC: D2890052 00011703
	s_and_b32 s82, s82, 0xffffff                               // 00000000E6F4: 8652FF52 00FFFFFF
	s_cmp_lt_u32 s82, s66                                      // 00000000E6FC: BF0A4252
	s_cselect_b32 s21, s36, s60                                // 00000000E700: 85153C24
	s_mov_b64 exec, s[20:21]                                   // 00000000E704: BEFE0114
	global_atomic_add_f32 v6, v123, s[8:9] offset:8            // 00000000E708: DD348008 00087B06
	global_atomic_add_f32 v6, v127, s[8:9] offset:264          // 00000000E710: DD348108 00087F06
	global_atomic_add_f32 v6, v131, s[8:9] offset:520          // 00000000E718: DD348208 00088306
	global_atomic_add_f32 v6, v135, s[8:9] offset:776          // 00000000E720: DD348308 00088706
	global_atomic_add_f32 v6, v139, s[8:9] offset:1032         // 00000000E728: DD348408 00088B06
	global_atomic_add_f32 v6, v143, s[8:9] offset:1288         // 00000000E730: DD348508 00088F06
	global_atomic_add_f32 v6, v147, s[8:9] offset:1544         // 00000000E738: DD348608 00089306
	global_atomic_add_f32 v6, v151, s[8:9] offset:1800         // 00000000E740: DD348708 00089706
	s_mov_b64 exec, s[36:37]                                   // 00000000E748: BEFE0124
	ds_write_b64 v20, v[152:153]                               // 00000000E74C: D89A0000 00009814
	ds_write_b64 v20, v[156:157] offset:17408                  // 00000000E754: D89A4400 00009C14
	ds_write_b64 v20, v[160:161] offset:34816                  // 00000000E75C: D89A8800 0000A014
	ds_write_b64 v20, v[164:165] offset:2176                   // 00000000E764: D89A0880 0000A414
	ds_write_b64 v20, v[168:169] offset:19584                  // 00000000E76C: D89A4C80 0000A814
	ds_write_b64 v20, v[172:173] offset:36992                  // 00000000E774: D89A9080 0000AC14
	ds_write_b64 v20, v[176:177] offset:4352                   // 00000000E77C: D89A1100 0000B014
	ds_write_b64 v20, v[180:181] offset:21760                  // 00000000E784: D89A5500 0000B414
	ds_write_b64 v20, v[184:185] offset:39168                  // 00000000E78C: D89A9900 0000B814
	ds_write_b64 v20, v[188:189] offset:6528                   // 00000000E794: D89A1980 0000BC14
	ds_write_b64 v20, v[192:193] offset:23936                  // 00000000E79C: D89A5D80 0000C014
	ds_write_b64 v20, v[196:197] offset:41344                  // 00000000E7A4: D89AA180 0000C414
	ds_write_b64 v20, v[200:201] offset:8704                   // 00000000E7AC: D89A2200 0000C814
	ds_write_b64 v20, v[204:205] offset:26112                  // 00000000E7B4: D89A6600 0000CC14
	ds_write_b64 v20, v[208:209] offset:43520                  // 00000000E7BC: D89AAA00 0000D014
	ds_write_b64 v20, v[212:213] offset:10880                  // 00000000E7C4: D89A2A80 0000D414
	ds_write_b64 v20, v[216:217] offset:28288                  // 00000000E7CC: D89A6E80 0000D814
	ds_write_b64 v20, v[220:221] offset:45696                  // 00000000E7D4: D89AB280 0000DC14
	ds_write_b64 v20, v[224:225] offset:13056                  // 00000000E7DC: D89A3300 0000E014
	ds_write_b64 v20, v[228:229] offset:30464                  // 00000000E7E4: D89A7700 0000E414
	ds_write_b64 v20, v[232:233] offset:47872                  // 00000000E7EC: D89ABB00 0000E814
	ds_write_b64 v20, v[236:237] offset:15232                  // 00000000E7F4: D89A3B80 0000EC14
	ds_write_b64 v20, v[240:241] offset:32640                  // 00000000E7FC: D89A7F80 0000F014
	ds_write_b64 v20, v[244:245] offset:50048                  // 00000000E804: D89AC380 0000F414
	s_waitcnt lgkmcnt(0)                                       // 00000000E80C: BF8CC07F
	s_barrier                                                  // 00000000E810: BF8A0000
	ds_read_b32 v152, v21                                      // 00000000E814: D86C0000 98000015
	ds_read_b32 v153, v21 offset:64                            // 00000000E81C: D86C0040 99000015
	ds_read_b32 v156, v21 offset:2176                          // 00000000E824: D86C0880 9C000015
	ds_read_b32 v157, v21 offset:2240                          // 00000000E82C: D86C08C0 9D000015
	ds_read_b32 v160, v21 offset:4352                          // 00000000E834: D86C1100 A0000015
	ds_read_b32 v161, v21 offset:4416                          // 00000000E83C: D86C1140 A1000015
	ds_read_b32 v164, v21 offset:6528                          // 00000000E844: D86C1980 A4000015
	ds_read_b32 v165, v21 offset:6592                          // 00000000E84C: D86C19C0 A5000015
	ds_read_b32 v168, v21 offset:8704                          // 00000000E854: D86C2200 A8000015
	ds_read_b32 v169, v21 offset:8768                          // 00000000E85C: D86C2240 A9000015
	ds_read_b32 v172, v21 offset:10880                         // 00000000E864: D86C2A80 AC000015
	ds_read_b32 v173, v21 offset:10944                         // 00000000E86C: D86C2AC0 AD000015
	ds_read_b32 v176, v21 offset:13056                         // 00000000E874: D86C3300 B0000015
	ds_read_b32 v177, v21 offset:13120                         // 00000000E87C: D86C3340 B1000015
	ds_read_b32 v180, v21 offset:15232                         // 00000000E884: D86C3B80 B4000015
	ds_read_b32 v181, v21 offset:15296                         // 00000000E88C: D86C3BC0 B5000015
	ds_read_b32 v184, v21 offset:17408                         // 00000000E894: D86C4400 B8000015
	ds_read_b32 v185, v21 offset:17472                         // 00000000E89C: D86C4440 B9000015
	ds_read_b32 v188, v21 offset:19584                         // 00000000E8A4: D86C4C80 BC000015
	ds_read_b32 v189, v21 offset:19648                         // 00000000E8AC: D86C4CC0 BD000015
	ds_read_b32 v192, v21 offset:21760                         // 00000000E8B4: D86C5500 C0000015
	ds_read_b32 v193, v21 offset:21824                         // 00000000E8BC: D86C5540 C1000015
	ds_read_b32 v196, v21 offset:23936                         // 00000000E8C4: D86C5D80 C4000015
	ds_read_b32 v197, v21 offset:24000                         // 00000000E8CC: D86C5DC0 C5000015
	ds_read_b32 v200, v21 offset:26112                         // 00000000E8D4: D86C6600 C8000015
	ds_read_b32 v201, v21 offset:26176                         // 00000000E8DC: D86C6640 C9000015
	ds_read_b32 v204, v21 offset:28288                         // 00000000E8E4: D86C6E80 CC000015
	ds_read_b32 v205, v21 offset:28352                         // 00000000E8EC: D86C6EC0 CD000015
	ds_read_b32 v208, v21 offset:30464                         // 00000000E8F4: D86C7700 D0000015
	ds_read_b32 v209, v21 offset:30528                         // 00000000E8FC: D86C7740 D1000015
	ds_read_b32 v212, v21 offset:32640                         // 00000000E904: D86C7F80 D4000015
	ds_read_b32 v213, v21 offset:32704                         // 00000000E90C: D86C7FC0 D5000015
	ds_read_b32 v216, v21 offset:34816                         // 00000000E914: D86C8800 D8000015
	ds_read_b32 v217, v21 offset:34880                         // 00000000E91C: D86C8840 D9000015
	ds_read_b32 v220, v21 offset:36992                         // 00000000E924: D86C9080 DC000015
	ds_read_b32 v221, v21 offset:37056                         // 00000000E92C: D86C90C0 DD000015
	ds_read_b32 v224, v21 offset:39168                         // 00000000E934: D86C9900 E0000015
	ds_read_b32 v225, v21 offset:39232                         // 00000000E93C: D86C9940 E1000015
	ds_read_b32 v228, v21 offset:41344                         // 00000000E944: D86CA180 E4000015
	ds_read_b32 v229, v21 offset:41408                         // 00000000E94C: D86CA1C0 E5000015
	ds_read_b32 v232, v21 offset:43520                         // 00000000E954: D86CAA00 E8000015
	ds_read_b32 v233, v21 offset:43584                         // 00000000E95C: D86CAA40 E9000015
	ds_read_b32 v236, v21 offset:45696                         // 00000000E964: D86CB280 EC000015
	ds_read_b32 v237, v21 offset:45760                         // 00000000E96C: D86CB2C0 ED000015
	ds_read_b32 v240, v21 offset:47872                         // 00000000E974: D86CBB00 F0000015
	ds_read_b32 v241, v21 offset:47936                         // 00000000E97C: D86CBB40 F1000015
	ds_read_b32 v244, v21 offset:50048                         // 00000000E984: D86CC380 F4000015
	ds_read_b32 v245, v21 offset:50112                         // 00000000E98C: D86CC3C0 F5000015
	s_mul_i32 s60, s65, 4                                      // 00000000E994: 923C8441
	s_add_u32 s8, s60, s8                                      // 00000000E998: 8008083C
	s_addc_u32 s9, 0, s9                                       // 00000000E99C: 82090980
	s_waitcnt lgkmcnt(0)                                       // 00000000E9A0: BF8CC07F
	v_mov_b32_e32 v7, 0                                        // 00000000E9A4: 7E0E0280
	s_mov_b64 exec, s[36:37]                                   // 00000000E9A8: BEFE0124
	v_mov_b32_e32 v6, v41                                      // 00000000E9AC: 7E0C0329
	s_mov_b64 s[60:61], 0                                      // 00000000E9B0: BEBC0180
	v_readlane_b32 s82, v3, 0                                  // 00000000E9B4: D2890052 00010103
	s_and_b32 s82, s82, 0xffffff                               // 00000000E9BC: 8652FF52 00FFFFFF
	s_cmp_lt_u32 s82, s66                                      // 00000000E9C4: BF0A4252
	s_cselect_b32 s20, s36, s60                                // 00000000E9C8: 85143C24
	v_readlane_b32 s82, v3, 1                                  // 00000000E9CC: D2890052 00010303
	s_and_b32 s82, s82, 0xffffff                               // 00000000E9D4: 8652FF52 00FFFFFF
	s_cmp_lt_u32 s82, s66                                      // 00000000E9DC: BF0A4252
	s_cselect_b32 s21, s36, s60                                // 00000000E9E0: 85153C24
	s_mov_b64 exec, s[20:21]                                   // 00000000E9E4: BEFE0114
	global_atomic_add_f32 v6, v152, s[8:9]                     // 00000000E9E8: DD348000 00089806
	global_atomic_add_f32 v6, v156, s[8:9] offset:256          // 00000000E9F0: DD348100 00089C06
	global_atomic_add_f32 v6, v160, s[8:9] offset:512          // 00000000E9F8: DD348200 0008A006
	global_atomic_add_f32 v6, v164, s[8:9] offset:768          // 00000000EA00: DD348300 0008A406
	global_atomic_add_f32 v6, v168, s[8:9] offset:1024         // 00000000EA08: DD348400 0008A806
	global_atomic_add_f32 v6, v172, s[8:9] offset:1280         // 00000000EA10: DD348500 0008AC06
	global_atomic_add_f32 v6, v176, s[8:9] offset:1536         // 00000000EA18: DD348600 0008B006
	global_atomic_add_f32 v6, v180, s[8:9] offset:1792         // 00000000EA20: DD348700 0008B406
	s_mov_b64 exec, s[36:37]                                   // 00000000EA28: BEFE0124
	v_mov_b32_e32 v6, v42                                      // 00000000EA2C: 7E0C032A
	s_mov_b64 s[60:61], 0                                      // 00000000EA30: BEBC0180
	v_readlane_b32 s82, v3, 2                                  // 00000000EA34: D2890052 00010503
	s_and_b32 s82, s82, 0xffffff                               // 00000000EA3C: 8652FF52 00FFFFFF
	s_cmp_lt_u32 s82, s66                                      // 00000000EA44: BF0A4252
	s_cselect_b32 s20, s36, s60                                // 00000000EA48: 85143C24
	v_readlane_b32 s82, v3, 3                                  // 00000000EA4C: D2890052 00010703
	s_and_b32 s82, s82, 0xffffff                               // 00000000EA54: 8652FF52 00FFFFFF
	s_cmp_lt_u32 s82, s66                                      // 00000000EA5C: BF0A4252
	s_cselect_b32 s21, s36, s60                                // 00000000EA60: 85153C24
	s_mov_b64 exec, s[20:21]                                   // 00000000EA64: BEFE0114
	global_atomic_add_f32 v6, v153, s[8:9]                     // 00000000EA68: DD348000 00089906
	global_atomic_add_f32 v6, v157, s[8:9] offset:256          // 00000000EA70: DD348100 00089D06
	global_atomic_add_f32 v6, v161, s[8:9] offset:512          // 00000000EA78: DD348200 0008A106
	global_atomic_add_f32 v6, v165, s[8:9] offset:768          // 00000000EA80: DD348300 0008A506
	global_atomic_add_f32 v6, v169, s[8:9] offset:1024         // 00000000EA88: DD348400 0008A906
	global_atomic_add_f32 v6, v173, s[8:9] offset:1280         // 00000000EA90: DD348500 0008AD06
	global_atomic_add_f32 v6, v177, s[8:9] offset:1536         // 00000000EA98: DD348600 0008B106
	global_atomic_add_f32 v6, v181, s[8:9] offset:1792         // 00000000EAA0: DD348700 0008B506
	s_mov_b64 exec, s[36:37]                                   // 00000000EAA8: BEFE0124
	v_mov_b32_e32 v6, v43                                      // 00000000EAAC: 7E0C032B
	s_mov_b64 s[60:61], 0                                      // 00000000EAB0: BEBC0180
	v_readlane_b32 s82, v3, 4                                  // 00000000EAB4: D2890052 00010903
	s_and_b32 s82, s82, 0xffffff                               // 00000000EABC: 8652FF52 00FFFFFF
	s_cmp_lt_u32 s82, s66                                      // 00000000EAC4: BF0A4252
	s_cselect_b32 s20, s36, s60                                // 00000000EAC8: 85143C24
	v_readlane_b32 s82, v3, 5                                  // 00000000EACC: D2890052 00010B03
	s_and_b32 s82, s82, 0xffffff                               // 00000000EAD4: 8652FF52 00FFFFFF
	s_cmp_lt_u32 s82, s66                                      // 00000000EADC: BF0A4252
	s_cselect_b32 s21, s36, s60                                // 00000000EAE0: 85153C24
	s_mov_b64 exec, s[20:21]                                   // 00000000EAE4: BEFE0114
	global_atomic_add_f32 v6, v184, s[8:9]                     // 00000000EAE8: DD348000 0008B806
	global_atomic_add_f32 v6, v188, s[8:9] offset:256          // 00000000EAF0: DD348100 0008BC06
	global_atomic_add_f32 v6, v192, s[8:9] offset:512          // 00000000EAF8: DD348200 0008C006
	global_atomic_add_f32 v6, v196, s[8:9] offset:768          // 00000000EB00: DD348300 0008C406
	global_atomic_add_f32 v6, v200, s[8:9] offset:1024         // 00000000EB08: DD348400 0008C806
	global_atomic_add_f32 v6, v204, s[8:9] offset:1280         // 00000000EB10: DD348500 0008CC06
	global_atomic_add_f32 v6, v208, s[8:9] offset:1536         // 00000000EB18: DD348600 0008D006
	global_atomic_add_f32 v6, v212, s[8:9] offset:1792         // 00000000EB20: DD348700 0008D406
	s_mov_b64 exec, s[36:37]                                   // 00000000EB28: BEFE0124
	v_mov_b32_e32 v6, v44                                      // 00000000EB2C: 7E0C032C
	s_mov_b64 s[60:61], 0                                      // 00000000EB30: BEBC0180
	v_readlane_b32 s82, v3, 6                                  // 00000000EB34: D2890052 00010D03
	s_and_b32 s82, s82, 0xffffff                               // 00000000EB3C: 8652FF52 00FFFFFF
	s_cmp_lt_u32 s82, s66                                      // 00000000EB44: BF0A4252
	s_cselect_b32 s20, s36, s60                                // 00000000EB48: 85143C24
	v_readlane_b32 s82, v3, 7                                  // 00000000EB4C: D2890052 00010F03
	s_and_b32 s82, s82, 0xffffff                               // 00000000EB54: 8652FF52 00FFFFFF
	s_cmp_lt_u32 s82, s66                                      // 00000000EB5C: BF0A4252
	s_cselect_b32 s21, s36, s60                                // 00000000EB60: 85153C24
	s_mov_b64 exec, s[20:21]                                   // 00000000EB64: BEFE0114
	global_atomic_add_f32 v6, v185, s[8:9]                     // 00000000EB68: DD348000 0008B906
	global_atomic_add_f32 v6, v189, s[8:9] offset:256          // 00000000EB70: DD348100 0008BD06
	global_atomic_add_f32 v6, v193, s[8:9] offset:512          // 00000000EB78: DD348200 0008C106
	global_atomic_add_f32 v6, v197, s[8:9] offset:768          // 00000000EB80: DD348300 0008C506
	global_atomic_add_f32 v6, v201, s[8:9] offset:1024         // 00000000EB88: DD348400 0008C906
	global_atomic_add_f32 v6, v205, s[8:9] offset:1280         // 00000000EB90: DD348500 0008CD06
	global_atomic_add_f32 v6, v209, s[8:9] offset:1536         // 00000000EB98: DD348600 0008D106
	global_atomic_add_f32 v6, v213, s[8:9] offset:1792         // 00000000EBA0: DD348700 0008D506
	s_mov_b64 exec, s[36:37]                                   // 00000000EBA8: BEFE0124
	v_mov_b32_e32 v6, v45                                      // 00000000EBAC: 7E0C032D
	s_mov_b64 s[60:61], 0                                      // 00000000EBB0: BEBC0180
	v_readlane_b32 s82, v3, 8                                  // 00000000EBB4: D2890052 00011103
	s_and_b32 s82, s82, 0xffffff                               // 00000000EBBC: 8652FF52 00FFFFFF
	s_cmp_lt_u32 s82, s66                                      // 00000000EBC4: BF0A4252
	s_cselect_b32 s20, s36, s60                                // 00000000EBC8: 85143C24
	v_readlane_b32 s82, v3, 9                                  // 00000000EBCC: D2890052 00011303
	s_and_b32 s82, s82, 0xffffff                               // 00000000EBD4: 8652FF52 00FFFFFF
	s_cmp_lt_u32 s82, s66                                      // 00000000EBDC: BF0A4252
	s_cselect_b32 s21, s36, s60                                // 00000000EBE0: 85153C24
	s_mov_b64 exec, s[20:21]                                   // 00000000EBE4: BEFE0114
	global_atomic_add_f32 v6, v216, s[8:9]                     // 00000000EBE8: DD348000 0008D806
	global_atomic_add_f32 v6, v220, s[8:9] offset:256          // 00000000EBF0: DD348100 0008DC06
	global_atomic_add_f32 v6, v224, s[8:9] offset:512          // 00000000EBF8: DD348200 0008E006
	global_atomic_add_f32 v6, v228, s[8:9] offset:768          // 00000000EC00: DD348300 0008E406
	global_atomic_add_f32 v6, v232, s[8:9] offset:1024         // 00000000EC08: DD348400 0008E806
	global_atomic_add_f32 v6, v236, s[8:9] offset:1280         // 00000000EC10: DD348500 0008EC06
	global_atomic_add_f32 v6, v240, s[8:9] offset:1536         // 00000000EC18: DD348600 0008F006
	global_atomic_add_f32 v6, v244, s[8:9] offset:1792         // 00000000EC20: DD348700 0008F406
	s_mov_b64 exec, s[36:37]                                   // 00000000EC28: BEFE0124
	v_mov_b32_e32 v6, v46                                      // 00000000EC2C: 7E0C032E
	s_mov_b64 s[60:61], 0                                      // 00000000EC30: BEBC0180
	v_readlane_b32 s82, v3, 10                                 // 00000000EC34: D2890052 00011503
	s_and_b32 s82, s82, 0xffffff                               // 00000000EC3C: 8652FF52 00FFFFFF
	s_cmp_lt_u32 s82, s66                                      // 00000000EC44: BF0A4252
	s_cselect_b32 s20, s36, s60                                // 00000000EC48: 85143C24
	v_readlane_b32 s82, v3, 11                                 // 00000000EC4C: D2890052 00011703
	s_and_b32 s82, s82, 0xffffff                               // 00000000EC54: 8652FF52 00FFFFFF
	s_cmp_lt_u32 s82, s66                                      // 00000000EC5C: BF0A4252
	s_cselect_b32 s21, s36, s60                                // 00000000EC60: 85153C24
	s_mov_b64 exec, s[20:21]                                   // 00000000EC64: BEFE0114
	global_atomic_add_f32 v6, v217, s[8:9]                     // 00000000EC68: DD348000 0008D906
	global_atomic_add_f32 v6, v221, s[8:9] offset:256          // 00000000EC70: DD348100 0008DD06
	global_atomic_add_f32 v6, v225, s[8:9] offset:512          // 00000000EC78: DD348200 0008E106
	global_atomic_add_f32 v6, v229, s[8:9] offset:768          // 00000000EC80: DD348300 0008E506
	global_atomic_add_f32 v6, v233, s[8:9] offset:1024         // 00000000EC88: DD348400 0008E906
	global_atomic_add_f32 v6, v237, s[8:9] offset:1280         // 00000000EC90: DD348500 0008ED06
	global_atomic_add_f32 v6, v241, s[8:9] offset:1536         // 00000000EC98: DD348600 0008F106
	global_atomic_add_f32 v6, v245, s[8:9] offset:1792         // 00000000ECA0: DD348700 0008F506
	s_mov_b64 exec, s[36:37]                                   // 00000000ECA8: BEFE0124
	ds_write_b64 v20, v[154:155]                               // 00000000ECAC: D89A0000 00009A14
	ds_write_b64 v20, v[158:159] offset:17408                  // 00000000ECB4: D89A4400 00009E14
	ds_write_b64 v20, v[162:163] offset:34816                  // 00000000ECBC: D89A8800 0000A214
	ds_write_b64 v20, v[166:167] offset:2176                   // 00000000ECC4: D89A0880 0000A614
	ds_write_b64 v20, v[170:171] offset:19584                  // 00000000ECCC: D89A4C80 0000AA14
	ds_write_b64 v20, v[174:175] offset:36992                  // 00000000ECD4: D89A9080 0000AE14
	ds_write_b64 v20, v[178:179] offset:4352                   // 00000000ECDC: D89A1100 0000B214
	ds_write_b64 v20, v[182:183] offset:21760                  // 00000000ECE4: D89A5500 0000B614
	ds_write_b64 v20, v[186:187] offset:39168                  // 00000000ECEC: D89A9900 0000BA14
	ds_write_b64 v20, v[190:191] offset:6528                   // 00000000ECF4: D89A1980 0000BE14
	ds_write_b64 v20, v[194:195] offset:23936                  // 00000000ECFC: D89A5D80 0000C214
	ds_write_b64 v20, v[198:199] offset:41344                  // 00000000ED04: D89AA180 0000C614
	ds_write_b64 v20, v[202:203] offset:8704                   // 00000000ED0C: D89A2200 0000CA14
	ds_write_b64 v20, v[206:207] offset:26112                  // 00000000ED14: D89A6600 0000CE14
	ds_write_b64 v20, v[210:211] offset:43520                  // 00000000ED1C: D89AAA00 0000D214
	ds_write_b64 v20, v[214:215] offset:10880                  // 00000000ED24: D89A2A80 0000D614
	ds_write_b64 v20, v[218:219] offset:28288                  // 00000000ED2C: D89A6E80 0000DA14
	ds_write_b64 v20, v[222:223] offset:45696                  // 00000000ED34: D89AB280 0000DE14
	ds_write_b64 v20, v[226:227] offset:13056                  // 00000000ED3C: D89A3300 0000E214
	ds_write_b64 v20, v[230:231] offset:30464                  // 00000000ED44: D89A7700 0000E614
	ds_write_b64 v20, v[234:235] offset:47872                  // 00000000ED4C: D89ABB00 0000EA14
	ds_write_b64 v20, v[238:239] offset:15232                  // 00000000ED54: D89A3B80 0000EE14
	ds_write_b64 v20, v[242:243] offset:32640                  // 00000000ED5C: D89A7F80 0000F214
	ds_write_b64 v20, v[246:247] offset:50048                  // 00000000ED64: D89AC380 0000F614
	s_waitcnt lgkmcnt(0)                                       // 00000000ED6C: BF8CC07F
	s_barrier                                                  // 00000000ED70: BF8A0000
	ds_read_b32 v154, v21                                      // 00000000ED74: D86C0000 9A000015
	ds_read_b32 v155, v21 offset:64                            // 00000000ED7C: D86C0040 9B000015
	ds_read_b32 v158, v21 offset:2176                          // 00000000ED84: D86C0880 9E000015
	ds_read_b32 v159, v21 offset:2240                          // 00000000ED8C: D86C08C0 9F000015
	ds_read_b32 v162, v21 offset:4352                          // 00000000ED94: D86C1100 A2000015
	ds_read_b32 v163, v21 offset:4416                          // 00000000ED9C: D86C1140 A3000015
	ds_read_b32 v166, v21 offset:6528                          // 00000000EDA4: D86C1980 A6000015
	ds_read_b32 v167, v21 offset:6592                          // 00000000EDAC: D86C19C0 A7000015
	ds_read_b32 v170, v21 offset:8704                          // 00000000EDB4: D86C2200 AA000015
	ds_read_b32 v171, v21 offset:8768                          // 00000000EDBC: D86C2240 AB000015
	ds_read_b32 v174, v21 offset:10880                         // 00000000EDC4: D86C2A80 AE000015
	ds_read_b32 v175, v21 offset:10944                         // 00000000EDCC: D86C2AC0 AF000015
	ds_read_b32 v178, v21 offset:13056                         // 00000000EDD4: D86C3300 B2000015
	ds_read_b32 v179, v21 offset:13120                         // 00000000EDDC: D86C3340 B3000015
	ds_read_b32 v182, v21 offset:15232                         // 00000000EDE4: D86C3B80 B6000015
	ds_read_b32 v183, v21 offset:15296                         // 00000000EDEC: D86C3BC0 B7000015
	ds_read_b32 v186, v21 offset:17408                         // 00000000EDF4: D86C4400 BA000015
	ds_read_b32 v187, v21 offset:17472                         // 00000000EDFC: D86C4440 BB000015
	ds_read_b32 v190, v21 offset:19584                         // 00000000EE04: D86C4C80 BE000015
	ds_read_b32 v191, v21 offset:19648                         // 00000000EE0C: D86C4CC0 BF000015
	ds_read_b32 v194, v21 offset:21760                         // 00000000EE14: D86C5500 C2000015
	ds_read_b32 v195, v21 offset:21824                         // 00000000EE1C: D86C5540 C3000015
	ds_read_b32 v198, v21 offset:23936                         // 00000000EE24: D86C5D80 C6000015
	ds_read_b32 v199, v21 offset:24000                         // 00000000EE2C: D86C5DC0 C7000015
	ds_read_b32 v202, v21 offset:26112                         // 00000000EE34: D86C6600 CA000015
	ds_read_b32 v203, v21 offset:26176                         // 00000000EE3C: D86C6640 CB000015
	ds_read_b32 v206, v21 offset:28288                         // 00000000EE44: D86C6E80 CE000015
	ds_read_b32 v207, v21 offset:28352                         // 00000000EE4C: D86C6EC0 CF000015
	ds_read_b32 v210, v21 offset:30464                         // 00000000EE54: D86C7700 D2000015
	ds_read_b32 v211, v21 offset:30528                         // 00000000EE5C: D86C7740 D3000015
	ds_read_b32 v214, v21 offset:32640                         // 00000000EE64: D86C7F80 D6000015
	ds_read_b32 v215, v21 offset:32704                         // 00000000EE6C: D86C7FC0 D7000015
	ds_read_b32 v218, v21 offset:34816                         // 00000000EE74: D86C8800 DA000015
	ds_read_b32 v219, v21 offset:34880                         // 00000000EE7C: D86C8840 DB000015
	ds_read_b32 v222, v21 offset:36992                         // 00000000EE84: D86C9080 DE000015
	ds_read_b32 v223, v21 offset:37056                         // 00000000EE8C: D86C90C0 DF000015
	ds_read_b32 v226, v21 offset:39168                         // 00000000EE94: D86C9900 E2000015
	ds_read_b32 v227, v21 offset:39232                         // 00000000EE9C: D86C9940 E3000015
	ds_read_b32 v230, v21 offset:41344                         // 00000000EEA4: D86CA180 E6000015
	ds_read_b32 v231, v21 offset:41408                         // 00000000EEAC: D86CA1C0 E7000015
	ds_read_b32 v234, v21 offset:43520                         // 00000000EEB4: D86CAA00 EA000015
	ds_read_b32 v235, v21 offset:43584                         // 00000000EEBC: D86CAA40 EB000015
	ds_read_b32 v238, v21 offset:45696                         // 00000000EEC4: D86CB280 EE000015
	ds_read_b32 v239, v21 offset:45760                         // 00000000EECC: D86CB2C0 EF000015
	ds_read_b32 v242, v21 offset:47872                         // 00000000EED4: D86CBB00 F2000015
	ds_read_b32 v243, v21 offset:47936                         // 00000000EEDC: D86CBB40 F3000015
	ds_read_b32 v246, v21 offset:50048                         // 00000000EEE4: D86CC380 F6000015
	ds_read_b32 v247, v21 offset:50112                         // 00000000EEEC: D86CC3C0 F7000015
	s_waitcnt lgkmcnt(0)                                       // 00000000EEF4: BF8CC07F
	v_mov_b32_e32 v7, 0                                        // 00000000EEF8: 7E0E0280
	s_mov_b64 exec, s[36:37]                                   // 00000000EEFC: BEFE0124
	v_mov_b32_e32 v6, v41                                      // 00000000EF00: 7E0C0329
	s_mov_b64 s[60:61], 0                                      // 00000000EF04: BEBC0180
	v_readlane_b32 s82, v3, 0                                  // 00000000EF08: D2890052 00010103
	s_and_b32 s82, s82, 0xffffff                               // 00000000EF10: 8652FF52 00FFFFFF
	s_cmp_lt_u32 s82, s66                                      // 00000000EF18: BF0A4252
	s_cselect_b32 s20, s36, s60                                // 00000000EF1C: 85143C24
	v_readlane_b32 s82, v3, 1                                  // 00000000EF20: D2890052 00010303
	s_and_b32 s82, s82, 0xffffff                               // 00000000EF28: 8652FF52 00FFFFFF
	s_cmp_lt_u32 s82, s66                                      // 00000000EF30: BF0A4252
	s_cselect_b32 s21, s36, s60                                // 00000000EF34: 85153C24
	s_mov_b64 exec, s[20:21]                                   // 00000000EF38: BEFE0114
	global_atomic_add_f32 v6, v154, s[8:9] offset:8            // 00000000EF3C: DD348008 00089A06
	global_atomic_add_f32 v6, v158, s[8:9] offset:264          // 00000000EF44: DD348108 00089E06
	global_atomic_add_f32 v6, v162, s[8:9] offset:520          // 00000000EF4C: DD348208 0008A206
	global_atomic_add_f32 v6, v166, s[8:9] offset:776          // 00000000EF54: DD348308 0008A606
	global_atomic_add_f32 v6, v170, s[8:9] offset:1032         // 00000000EF5C: DD348408 0008AA06
	global_atomic_add_f32 v6, v174, s[8:9] offset:1288         // 00000000EF64: DD348508 0008AE06
	global_atomic_add_f32 v6, v178, s[8:9] offset:1544         // 00000000EF6C: DD348608 0008B206
	global_atomic_add_f32 v6, v182, s[8:9] offset:1800         // 00000000EF74: DD348708 0008B606
	s_mov_b64 exec, s[36:37]                                   // 00000000EF7C: BEFE0124
	v_mov_b32_e32 v6, v42                                      // 00000000EF80: 7E0C032A
	s_mov_b64 s[60:61], 0                                      // 00000000EF84: BEBC0180
	v_readlane_b32 s82, v3, 2                                  // 00000000EF88: D2890052 00010503
	s_and_b32 s82, s82, 0xffffff                               // 00000000EF90: 8652FF52 00FFFFFF
	s_cmp_lt_u32 s82, s66                                      // 00000000EF98: BF0A4252
	s_cselect_b32 s20, s36, s60                                // 00000000EF9C: 85143C24
	v_readlane_b32 s82, v3, 3                                  // 00000000EFA0: D2890052 00010703
	s_and_b32 s82, s82, 0xffffff                               // 00000000EFA8: 8652FF52 00FFFFFF
	s_cmp_lt_u32 s82, s66                                      // 00000000EFB0: BF0A4252
	s_cselect_b32 s21, s36, s60                                // 00000000EFB4: 85153C24
	s_mov_b64 exec, s[20:21]                                   // 00000000EFB8: BEFE0114
	global_atomic_add_f32 v6, v155, s[8:9] offset:8            // 00000000EFBC: DD348008 00089B06
	global_atomic_add_f32 v6, v159, s[8:9] offset:264          // 00000000EFC4: DD348108 00089F06
	global_atomic_add_f32 v6, v163, s[8:9] offset:520          // 00000000EFCC: DD348208 0008A306
	global_atomic_add_f32 v6, v167, s[8:9] offset:776          // 00000000EFD4: DD348308 0008A706
	global_atomic_add_f32 v6, v171, s[8:9] offset:1032         // 00000000EFDC: DD348408 0008AB06
	global_atomic_add_f32 v6, v175, s[8:9] offset:1288         // 00000000EFE4: DD348508 0008AF06
	global_atomic_add_f32 v6, v179, s[8:9] offset:1544         // 00000000EFEC: DD348608 0008B306
	global_atomic_add_f32 v6, v183, s[8:9] offset:1800         // 00000000EFF4: DD348708 0008B706
	s_mov_b64 exec, s[36:37]                                   // 00000000EFFC: BEFE0124
	v_mov_b32_e32 v6, v43                                      // 00000000F000: 7E0C032B
	s_mov_b64 s[60:61], 0                                      // 00000000F004: BEBC0180
	v_readlane_b32 s82, v3, 4                                  // 00000000F008: D2890052 00010903
	s_and_b32 s82, s82, 0xffffff                               // 00000000F010: 8652FF52 00FFFFFF
	s_cmp_lt_u32 s82, s66                                      // 00000000F018: BF0A4252
	s_cselect_b32 s20, s36, s60                                // 00000000F01C: 85143C24
	v_readlane_b32 s82, v3, 5                                  // 00000000F020: D2890052 00010B03
	s_and_b32 s82, s82, 0xffffff                               // 00000000F028: 8652FF52 00FFFFFF
	s_cmp_lt_u32 s82, s66                                      // 00000000F030: BF0A4252
	s_cselect_b32 s21, s36, s60                                // 00000000F034: 85153C24
	s_mov_b64 exec, s[20:21]                                   // 00000000F038: BEFE0114
	global_atomic_add_f32 v6, v186, s[8:9] offset:8            // 00000000F03C: DD348008 0008BA06
	global_atomic_add_f32 v6, v190, s[8:9] offset:264          // 00000000F044: DD348108 0008BE06
	global_atomic_add_f32 v6, v194, s[8:9] offset:520          // 00000000F04C: DD348208 0008C206
	global_atomic_add_f32 v6, v198, s[8:9] offset:776          // 00000000F054: DD348308 0008C606
	global_atomic_add_f32 v6, v202, s[8:9] offset:1032         // 00000000F05C: DD348408 0008CA06
	global_atomic_add_f32 v6, v206, s[8:9] offset:1288         // 00000000F064: DD348508 0008CE06
	global_atomic_add_f32 v6, v210, s[8:9] offset:1544         // 00000000F06C: DD348608 0008D206
	global_atomic_add_f32 v6, v214, s[8:9] offset:1800         // 00000000F074: DD348708 0008D606
	s_mov_b64 exec, s[36:37]                                   // 00000000F07C: BEFE0124
	v_mov_b32_e32 v6, v44                                      // 00000000F080: 7E0C032C
	s_mov_b64 s[60:61], 0                                      // 00000000F084: BEBC0180
	v_readlane_b32 s82, v3, 6                                  // 00000000F088: D2890052 00010D03
	s_and_b32 s82, s82, 0xffffff                               // 00000000F090: 8652FF52 00FFFFFF
	s_cmp_lt_u32 s82, s66                                      // 00000000F098: BF0A4252
	s_cselect_b32 s20, s36, s60                                // 00000000F09C: 85143C24
	v_readlane_b32 s82, v3, 7                                  // 00000000F0A0: D2890052 00010F03
	s_and_b32 s82, s82, 0xffffff                               // 00000000F0A8: 8652FF52 00FFFFFF
	s_cmp_lt_u32 s82, s66                                      // 00000000F0B0: BF0A4252
	s_cselect_b32 s21, s36, s60                                // 00000000F0B4: 85153C24
	s_mov_b64 exec, s[20:21]                                   // 00000000F0B8: BEFE0114
	global_atomic_add_f32 v6, v187, s[8:9] offset:8            // 00000000F0BC: DD348008 0008BB06
	global_atomic_add_f32 v6, v191, s[8:9] offset:264          // 00000000F0C4: DD348108 0008BF06
	global_atomic_add_f32 v6, v195, s[8:9] offset:520          // 00000000F0CC: DD348208 0008C306
	global_atomic_add_f32 v6, v199, s[8:9] offset:776          // 00000000F0D4: DD348308 0008C706
	global_atomic_add_f32 v6, v203, s[8:9] offset:1032         // 00000000F0DC: DD348408 0008CB06
	global_atomic_add_f32 v6, v207, s[8:9] offset:1288         // 00000000F0E4: DD348508 0008CF06
	global_atomic_add_f32 v6, v211, s[8:9] offset:1544         // 00000000F0EC: DD348608 0008D306
	global_atomic_add_f32 v6, v215, s[8:9] offset:1800         // 00000000F0F4: DD348708 0008D706
	s_mov_b64 exec, s[36:37]                                   // 00000000F0FC: BEFE0124
	v_mov_b32_e32 v6, v45                                      // 00000000F100: 7E0C032D
	s_mov_b64 s[60:61], 0                                      // 00000000F104: BEBC0180
	v_readlane_b32 s82, v3, 8                                  // 00000000F108: D2890052 00011103
	s_and_b32 s82, s82, 0xffffff                               // 00000000F110: 8652FF52 00FFFFFF
	s_cmp_lt_u32 s82, s66                                      // 00000000F118: BF0A4252
	s_cselect_b32 s20, s36, s60                                // 00000000F11C: 85143C24
	v_readlane_b32 s82, v3, 9                                  // 00000000F120: D2890052 00011303
	s_and_b32 s82, s82, 0xffffff                               // 00000000F128: 8652FF52 00FFFFFF
	s_cmp_lt_u32 s82, s66                                      // 00000000F130: BF0A4252
	s_cselect_b32 s21, s36, s60                                // 00000000F134: 85153C24
	s_mov_b64 exec, s[20:21]                                   // 00000000F138: BEFE0114
	global_atomic_add_f32 v6, v218, s[8:9] offset:8            // 00000000F13C: DD348008 0008DA06
	global_atomic_add_f32 v6, v222, s[8:9] offset:264          // 00000000F144: DD348108 0008DE06
	global_atomic_add_f32 v6, v226, s[8:9] offset:520          // 00000000F14C: DD348208 0008E206
	global_atomic_add_f32 v6, v230, s[8:9] offset:776          // 00000000F154: DD348308 0008E606
	global_atomic_add_f32 v6, v234, s[8:9] offset:1032         // 00000000F15C: DD348408 0008EA06
	global_atomic_add_f32 v6, v238, s[8:9] offset:1288         // 00000000F164: DD348508 0008EE06
	global_atomic_add_f32 v6, v242, s[8:9] offset:1544         // 00000000F16C: DD348608 0008F206
	global_atomic_add_f32 v6, v246, s[8:9] offset:1800         // 00000000F174: DD348708 0008F606
	s_mov_b64 exec, s[36:37]                                   // 00000000F17C: BEFE0124
	v_mov_b32_e32 v6, v46                                      // 00000000F180: 7E0C032E
	s_mov_b64 s[60:61], 0                                      // 00000000F184: BEBC0180
	v_readlane_b32 s82, v3, 10                                 // 00000000F188: D2890052 00011503
	s_and_b32 s82, s82, 0xffffff                               // 00000000F190: 8652FF52 00FFFFFF
	s_cmp_lt_u32 s82, s66                                      // 00000000F198: BF0A4252
	s_cselect_b32 s20, s36, s60                                // 00000000F19C: 85143C24
	v_readlane_b32 s82, v3, 11                                 // 00000000F1A0: D2890052 00011703
	s_and_b32 s82, s82, 0xffffff                               // 00000000F1A8: 8652FF52 00FFFFFF
	s_cmp_lt_u32 s82, s66                                      // 00000000F1B0: BF0A4252
	s_cselect_b32 s21, s36, s60                                // 00000000F1B4: 85153C24
	s_mov_b64 exec, s[20:21]                                   // 00000000F1B8: BEFE0114
	global_atomic_add_f32 v6, v219, s[8:9] offset:8            // 00000000F1BC: DD348008 0008DB06
	global_atomic_add_f32 v6, v223, s[8:9] offset:264          // 00000000F1C4: DD348108 0008DF06
	global_atomic_add_f32 v6, v227, s[8:9] offset:520          // 00000000F1CC: DD348208 0008E306
	global_atomic_add_f32 v6, v231, s[8:9] offset:776          // 00000000F1D4: DD348308 0008E706
	global_atomic_add_f32 v6, v235, s[8:9] offset:1032         // 00000000F1DC: DD348408 0008EB06
	global_atomic_add_f32 v6, v239, s[8:9] offset:1288         // 00000000F1E4: DD348508 0008EF06
	global_atomic_add_f32 v6, v243, s[8:9] offset:1544         // 00000000F1EC: DD348608 0008F306
	global_atomic_add_f32 v6, v247, s[8:9] offset:1800         // 00000000F1F4: DD348708 0008F706
	s_mov_b64 exec, s[36:37]                                   // 00000000F1FC: BEFE0124
	s_branch label_3204                                        // 00000000F200: BF820000

000000000000f204 <label_3204>:
	s_waitcnt vmcnt(0) expcnt(0) lgkmcnt(0)                    // 00000000F204: BF8C0000
	s_endpgm                                                   // 00000000F208: BF810000
